;; amdgpu-corpus repo=ROCm/rocFFT kind=compiled arch=gfx906 opt=O3
	.text
	.amdgcn_target "amdgcn-amd-amdhsa--gfx906"
	.amdhsa_code_object_version 6
	.protected	bluestein_single_fwd_len1200_dim1_half_op_CI_CI ; -- Begin function bluestein_single_fwd_len1200_dim1_half_op_CI_CI
	.globl	bluestein_single_fwd_len1200_dim1_half_op_CI_CI
	.p2align	8
	.type	bluestein_single_fwd_len1200_dim1_half_op_CI_CI,@function
bluestein_single_fwd_len1200_dim1_half_op_CI_CI: ; @bluestein_single_fwd_len1200_dim1_half_op_CI_CI
; %bb.0:
	v_mul_u32_u24_e32 v1, 0x36a, v0
	s_load_dwordx4 s[8:11], s[4:5], 0x28
	v_lshrrev_b32_e32 v1, 16, v1
	v_mad_u64_u32 v[33:34], s[0:1], s6, 3, v[1:2]
	v_mov_b32_e32 v34, 0
	s_waitcnt lgkmcnt(0)
	v_cmp_gt_u64_e32 vcc, s[8:9], v[33:34]
	s_and_saveexec_b64 s[0:1], vcc
	s_cbranch_execz .LBB0_31
; %bb.1:
	s_load_dwordx4 s[12:15], s[4:5], 0x18
	v_mul_lo_u16_e32 v1, 0x4b, v1
	v_sub_u16_e32 v82, v0, v1
	s_waitcnt lgkmcnt(0)
	s_load_dwordx4 s[0:3], s[12:13], 0x0
	s_nop 0
	s_load_dwordx2 s[12:13], s[4:5], 0x0
	s_waitcnt lgkmcnt(0)
	v_mad_u64_u32 v[0:1], s[6:7], s2, v33, 0
	v_mad_u64_u32 v[2:3], s[6:7], s0, v82, 0
	;; [unrolled: 1-line block ×4, first 2 shown]
	v_mov_b32_e32 v1, v4
	v_lshlrev_b64 v[0:1], 2, v[0:1]
	v_mov_b32_e32 v6, s11
	v_mov_b32_e32 v3, v5
	v_add_co_u32_e32 v4, vcc, s10, v0
	v_addc_co_u32_e32 v5, vcc, v6, v1, vcc
	v_lshlrev_b64 v[0:1], 2, v[2:3]
	s_mul_i32 s2, s1, 0xf0
	v_add_co_u32_e32 v0, vcc, v4, v0
	v_addc_co_u32_e32 v1, vcc, v5, v1, vcc
	global_load_dword v4, v[0:1], off
	v_lshlrev_b32_e32 v5, 2, v82
	global_load_dword v84, v5, s[12:13]
	s_mul_hi_u32 s3, s0, 0xf0
	s_add_i32 s3, s3, s2
	s_mul_i32 s2, s0, 0xf0
	s_lshl_b64 s[16:17], s[2:3], 2
	v_mov_b32_e32 v6, s17
	v_add_co_u32_e32 v0, vcc, s16, v0
	v_addc_co_u32_e32 v1, vcc, v1, v6, vcc
	global_load_dword v7, v[0:1], off
	global_load_dword v83, v5, s[12:13] offset:960
	s_mov_b32 s2, 0xaaaaaaab
	v_mul_hi_u32 v2, v33, s2
	v_mov_b32_e32 v3, s13
	v_add_co_u32_e64 v31, s[2:3], s12, v5
	v_addc_co_u32_e64 v32, vcc, 0, v3, s[2:3]
	v_add_co_u32_e32 v0, vcc, s16, v0
	v_addc_co_u32_e32 v1, vcc, v1, v6, vcc
	s_load_dwordx2 s[6:7], s[4:5], 0x38
	s_load_dwordx4 s[8:11], s[14:15], 0x0
	global_load_dword v80, v5, s[12:13] offset:2880
	global_load_dword v79, v5, s[12:13] offset:3840
	;; [unrolled: 1-line block ×8, first 2 shown]
	global_load_dword v8, v[0:1], off
	v_lshrrev_b32_e32 v2, 1, v2
	v_lshl_add_u32 v2, v2, 1, v2
	v_sub_u32_e32 v2, v33, v2
	v_add_co_u32_e32 v0, vcc, s16, v0
	v_mul_u32_u24_e32 v2, 0x4b0, v2
	v_addc_co_u32_e32 v1, vcc, v1, v6, vcc
	v_lshlrev_b32_e32 v86, 2, v2
	v_add_co_u32_e32 v2, vcc, s16, v0
	v_addc_co_u32_e32 v3, vcc, v1, v6, vcc
	global_load_dword v10, v[0:1], off
	global_load_dword v11, v[2:3], off
	s_mul_hi_u32 s15, s0, 0xfffffc8b
	s_mulk_i32 s1, 0xfc8b
	s_mul_i32 s14, s0, 0xfffffc8b
	s_sub_i32 s0, s15, s0
	s_add_i32 s15, s0, s1
	s_lshl_b64 s[14:15], s[14:15], 2
	v_mov_b32_e32 v9, s15
	v_add_co_u32_e32 v0, vcc, s14, v2
	v_addc_co_u32_e32 v1, vcc, v3, v9, vcc
	global_load_dword v12, v[0:1], off
	v_add_co_u32_e32 v0, vcc, s16, v0
	v_addc_co_u32_e32 v1, vcc, v1, v6, vcc
	global_load_dword v13, v[0:1], off
	v_add_co_u32_e32 v0, vcc, s16, v0
	v_addc_co_u32_e32 v1, vcc, v1, v6, vcc
	global_load_dword v16, v[0:1], off
	v_add_co_u32_e32 v0, vcc, s16, v0
	v_addc_co_u32_e32 v1, vcc, v1, v6, vcc
	global_load_dword v17, v[0:1], off
	global_load_dword v75, v5, s[12:13] offset:3180
	v_add_co_u32_e32 v0, vcc, s16, v0
	v_addc_co_u32_e32 v1, vcc, v1, v6, vcc
	s_movk_i32 s0, 0x1000
	global_load_dword v18, v[0:1], off
	v_add_u32_e32 v68, v5, v86
	s_waitcnt vmcnt(20)
	v_lshrrev_b32_e32 v2, 16, v4
	s_waitcnt vmcnt(19)
	v_mul_f16_sdwa v3, v84, v4 dst_sel:DWORD dst_unused:UNUSED_PAD src0_sel:WORD_1 src1_sel:DWORD
	v_mul_f16_sdwa v14, v84, v2 dst_sel:DWORD dst_unused:UNUSED_PAD src0_sel:WORD_1 src1_sel:DWORD
	v_fma_f16 v2, v84, v2, -v3
	v_fma_f16 v3, v84, v4, v14
	v_pack_b32_f16 v14, v3, v2
	v_add_co_u32_e32 v2, vcc, s0, v31
	v_addc_co_u32_e32 v3, vcc, 0, v32, vcc
	global_load_dword v74, v[2:3], off offset:44
	v_add_co_u32_e32 v0, vcc, s14, v0
	v_addc_co_u32_e32 v1, vcc, v1, v9, vcc
	global_load_dword v9, v[0:1], off
	s_waitcnt vmcnt(20)
	v_lshrrev_b32_e32 v15, 16, v7
	s_waitcnt vmcnt(19)
	v_mul_f16_sdwa v4, v83, v15 dst_sel:DWORD dst_unused:UNUSED_PAD src0_sel:WORD_1 src1_sel:DWORD
	v_add_co_u32_e32 v0, vcc, s16, v0
	v_fma_f16 v4, v83, v7, v4
	v_mul_f16_sdwa v7, v83, v7 dst_sel:DWORD dst_unused:UNUSED_PAD src0_sel:WORD_1 src1_sel:DWORD
	v_addc_co_u32_e32 v1, vcc, v1, v6, vcc
	v_fma_f16 v7, v83, v15, -v7
	global_load_dword v15, v[0:1], off
	v_pack_b32_f16 v4, v4, v7
	v_add_co_u32_e32 v0, vcc, s16, v0
	ds_write_b32 v68, v4 offset:960
	v_addc_co_u32_e32 v1, vcc, v1, v6, vcc
	global_load_dword v7, v[0:1], off
	global_load_dword v70, v5, s[12:13] offset:3480
	global_load_dword v71, v5, s[12:13] offset:2520
	v_add_co_u32_e32 v0, vcc, s16, v0
	v_addc_co_u32_e32 v1, vcc, v1, v6, vcc
	global_load_dword v19, v[0:1], off
	s_waitcnt vmcnt(15)
	v_lshrrev_b32_e32 v4, 16, v8
	v_mul_f16_sdwa v5, v81, v4 dst_sel:DWORD dst_unused:UNUSED_PAD src0_sel:WORD_1 src1_sel:DWORD
	v_add_co_u32_e32 v0, vcc, s16, v0
	v_fma_f16 v5, v81, v8, v5
	v_mul_f16_sdwa v8, v81, v8 dst_sel:DWORD dst_unused:UNUSED_PAD src0_sel:WORD_1 src1_sel:DWORD
	v_addc_co_u32_e32 v1, vcc, v1, v6, vcc
	v_fma_f16 v4, v81, v4, -v8
	global_load_dword v8, v[0:1], off
	global_load_dword v69, v[2:3], off offset:344
	v_pack_b32_f16 v2, v5, v4
	ds_write_b32 v68, v2 offset:1920
	s_waitcnt vmcnt(16)
	v_lshrrev_b32_e32 v2, 16, v10
	v_mul_f16_sdwa v3, v80, v2 dst_sel:DWORD dst_unused:UNUSED_PAD src0_sel:WORD_1 src1_sel:DWORD
	v_mul_f16_sdwa v4, v80, v10 dst_sel:DWORD dst_unused:UNUSED_PAD src0_sel:WORD_1 src1_sel:DWORD
	v_fma_f16 v3, v80, v10, v3
	v_fma_f16 v2, v80, v2, -v4
	v_pack_b32_f16 v2, v3, v2
	ds_write_b32 v68, v2 offset:2880
	s_waitcnt vmcnt(15)
	v_lshrrev_b32_e32 v2, 16, v11
	v_mul_f16_sdwa v3, v79, v2 dst_sel:DWORD dst_unused:UNUSED_PAD src0_sel:WORD_1 src1_sel:DWORD
	v_mul_f16_sdwa v4, v79, v11 dst_sel:DWORD dst_unused:UNUSED_PAD src0_sel:WORD_1 src1_sel:DWORD
	v_fma_f16 v3, v79, v11, v3
	v_fma_f16 v2, v79, v2, -v4
	;; [unrolled: 8-line block ×3, first 2 shown]
	v_pack_b32_f16 v2, v3, v2
	ds_write2_b32 v68, v14, v2 offset1:75
	s_waitcnt vmcnt(13)
	v_lshrrev_b32_e32 v2, 16, v13
	v_mul_f16_sdwa v3, v77, v2 dst_sel:DWORD dst_unused:UNUSED_PAD src0_sel:WORD_1 src1_sel:DWORD
	v_mul_f16_sdwa v4, v77, v13 dst_sel:DWORD dst_unused:UNUSED_PAD src0_sel:WORD_1 src1_sel:DWORD
	v_fma_f16 v3, v77, v13, v3
	v_fma_f16 v2, v77, v2, -v4
	v_pack_b32_f16 v2, v3, v2
	s_waitcnt vmcnt(12)
	v_lshrrev_b32_e32 v3, 16, v16
	v_mul_f16_sdwa v4, v76, v3 dst_sel:DWORD dst_unused:UNUSED_PAD src0_sel:WORD_1 src1_sel:DWORD
	v_mul_f16_sdwa v5, v76, v16 dst_sel:DWORD dst_unused:UNUSED_PAD src0_sel:WORD_1 src1_sel:DWORD
	v_fma_f16 v4, v76, v16, v4
	v_fma_f16 v3, v76, v3, -v5
	v_pack_b32_f16 v3, v4, v3
	s_waitcnt vmcnt(11)
	v_lshrrev_b32_e32 v4, 16, v17
	s_waitcnt vmcnt(10)
	v_mul_f16_sdwa v5, v75, v4 dst_sel:DWORD dst_unused:UNUSED_PAD src0_sel:WORD_1 src1_sel:DWORD
	v_mul_f16_sdwa v6, v75, v17 dst_sel:DWORD dst_unused:UNUSED_PAD src0_sel:WORD_1 src1_sel:DWORD
	v_fma_f16 v5, v75, v17, v5
	v_fma_f16 v4, v75, v4, -v6
	v_pack_b32_f16 v5, v5, v4
	s_waitcnt vmcnt(9)
	v_lshrrev_b32_e32 v4, 16, v18
	s_waitcnt vmcnt(8)
	v_mul_f16_sdwa v6, v74, v4 dst_sel:DWORD dst_unused:UNUSED_PAD src0_sel:WORD_1 src1_sel:DWORD
	v_mul_f16_sdwa v10, v74, v18 dst_sel:DWORD dst_unused:UNUSED_PAD src0_sel:WORD_1 src1_sel:DWORD
	v_fma_f16 v6, v74, v18, v6
	v_fma_f16 v4, v74, v4, -v10
	v_pack_b32_f16 v10, v6, v4
	s_waitcnt vmcnt(7)
	v_lshrrev_b32_e32 v4, 16, v9
	v_mul_f16_sdwa v6, v73, v4 dst_sel:DWORD dst_unused:UNUSED_PAD src0_sel:WORD_1 src1_sel:DWORD
	v_fma_f16 v6, v73, v9, v6
	v_mul_f16_sdwa v9, v73, v9 dst_sel:DWORD dst_unused:UNUSED_PAD src0_sel:WORD_1 src1_sel:DWORD
	v_fma_f16 v4, v73, v4, -v9
	v_pack_b32_f16 v4, v6, v4
	ds_write_b32 v68, v4 offset:600
	v_cmp_gt_u16_e64 s[0:1], 15, v82
	s_waitcnt vmcnt(6)
	v_lshrrev_b32_e32 v4, 16, v15
	v_mul_f16_sdwa v6, v72, v4 dst_sel:DWORD dst_unused:UNUSED_PAD src0_sel:WORD_1 src1_sel:DWORD
	v_mul_f16_sdwa v9, v72, v15 dst_sel:DWORD dst_unused:UNUSED_PAD src0_sel:WORD_1 src1_sel:DWORD
	v_fma_f16 v6, v72, v15, v6
	v_fma_f16 v4, v72, v4, -v9
	v_pack_b32_f16 v6, v6, v4
	v_add_u32_e32 v4, 0x400, v68
	ds_write2_b32 v4, v2, v6 offset0:59 offset1:134
	s_waitcnt vmcnt(5)
	v_lshrrev_b32_e32 v2, 16, v7
	s_waitcnt vmcnt(3)
	v_mul_f16_sdwa v6, v71, v2 dst_sel:DWORD dst_unused:UNUSED_PAD src0_sel:WORD_1 src1_sel:DWORD
	v_fma_f16 v6, v71, v7, v6
	v_mul_f16_sdwa v7, v71, v7 dst_sel:DWORD dst_unused:UNUSED_PAD src0_sel:WORD_1 src1_sel:DWORD
	v_fma_f16 v2, v71, v2, -v7
	v_pack_b32_f16 v6, v6, v2
	v_add_u32_e32 v2, 0x800, v68
	ds_write2_b32 v2, v3, v6 offset0:43 offset1:118
	s_waitcnt vmcnt(2)
	v_lshrrev_b32_e32 v3, 16, v19
	v_mul_f16_sdwa v6, v70, v3 dst_sel:DWORD dst_unused:UNUSED_PAD src0_sel:WORD_1 src1_sel:DWORD
	v_mul_f16_sdwa v7, v70, v19 dst_sel:DWORD dst_unused:UNUSED_PAD src0_sel:WORD_1 src1_sel:DWORD
	v_fma_f16 v6, v70, v19, v6
	v_fma_f16 v3, v70, v3, -v7
	v_pack_b32_f16 v3, v6, v3
	v_add_u32_e32 v6, 0xc00, v68
	ds_write2_b32 v6, v5, v3 offset0:27 offset1:102
	s_waitcnt vmcnt(1)
	v_lshrrev_b32_e32 v3, 16, v8
	s_waitcnt vmcnt(0)
	v_mul_f16_sdwa v5, v69, v3 dst_sel:DWORD dst_unused:UNUSED_PAD src0_sel:WORD_1 src1_sel:DWORD
	v_mul_f16_sdwa v7, v69, v8 dst_sel:DWORD dst_unused:UNUSED_PAD src0_sel:WORD_1 src1_sel:DWORD
	v_fma_f16 v5, v69, v8, v5
	v_fma_f16 v3, v69, v3, -v7
	v_pack_b32_f16 v3, v5, v3
	v_add_u32_e32 v5, 0x1000, v68
	ds_write2_b32 v5, v10, v3 offset0:11 offset1:86
	s_and_saveexec_b64 s[18:19], s[0:1]
	s_cbranch_execz .LBB0_3
; %bb.2:
	v_mov_b32_e32 v3, s15
	v_add_co_u32_e32 v0, vcc, s14, v0
	v_addc_co_u32_e32 v1, vcc, v1, v3, vcc
	global_load_dword v3, v[0:1], off
	v_mov_b32_e32 v5, s17
	v_add_co_u32_e32 v0, vcc, s16, v0
	v_addc_co_u32_e32 v1, vcc, v1, v5, vcc
	global_load_dword v7, v[0:1], off
	global_load_dword v8, v[31:32], off offset:900
	global_load_dword v9, v[31:32], off offset:1860
	v_add_co_u32_e32 v0, vcc, s16, v0
	v_addc_co_u32_e32 v1, vcc, v1, v5, vcc
	global_load_dword v10, v[0:1], off
	v_add_co_u32_e32 v0, vcc, s16, v0
	v_addc_co_u32_e32 v1, vcc, v1, v5, vcc
	global_load_dword v11, v[0:1], off
	global_load_dword v12, v[31:32], off offset:2820
	global_load_dword v13, v[31:32], off offset:3780
	v_add_co_u32_e32 v0, vcc, s16, v0
	v_addc_co_u32_e32 v1, vcc, v1, v5, vcc
	global_load_dword v5, v[0:1], off
	v_add_co_u32_e32 v0, vcc, 0x1000, v31
	v_addc_co_u32_e32 v1, vcc, 0, v32, vcc
	global_load_dword v0, v[0:1], off offset:644
	v_add_u32_e32 v1, 0x380, v68
	v_add_u32_e32 v14, 0xb00, v68
	s_waitcnt vmcnt(9)
	v_lshrrev_b32_e32 v15, 16, v3
	s_waitcnt vmcnt(7)
	v_mul_f16_sdwa v16, v8, v3 dst_sel:DWORD dst_unused:UNUSED_PAD src0_sel:WORD_1 src1_sel:DWORD
	v_mul_f16_sdwa v17, v8, v15 dst_sel:DWORD dst_unused:UNUSED_PAD src0_sel:WORD_1 src1_sel:DWORD
	v_fma_f16 v15, v8, v15, -v16
	v_lshrrev_b32_e32 v16, 16, v7
	s_waitcnt vmcnt(6)
	v_mul_f16_sdwa v18, v9, v7 dst_sel:DWORD dst_unused:UNUSED_PAD src0_sel:WORD_1 src1_sel:DWORD
	v_fma_f16 v3, v8, v3, v17
	v_mul_f16_sdwa v8, v9, v16 dst_sel:DWORD dst_unused:UNUSED_PAD src0_sel:WORD_1 src1_sel:DWORD
	v_fma_f16 v16, v9, v16, -v18
	s_waitcnt vmcnt(5)
	v_lshrrev_b32_e32 v17, 16, v10
	v_pack_b32_f16 v3, v3, v15
	s_waitcnt vmcnt(3)
	v_mul_f16_sdwa v18, v12, v10 dst_sel:DWORD dst_unused:UNUSED_PAD src0_sel:WORD_1 src1_sel:DWORD
	v_fma_f16 v7, v9, v7, v8
	v_mul_f16_sdwa v8, v12, v17 dst_sel:DWORD dst_unused:UNUSED_PAD src0_sel:WORD_1 src1_sel:DWORD
	v_fma_f16 v9, v12, v17, -v18
	v_lshrrev_b32_e32 v15, 16, v11
	s_waitcnt vmcnt(2)
	v_mul_f16_sdwa v17, v13, v11 dst_sel:DWORD dst_unused:UNUSED_PAD src0_sel:WORD_1 src1_sel:DWORD
	v_pack_b32_f16 v7, v7, v16
	v_fma_f16 v8, v12, v10, v8
	v_mul_f16_sdwa v10, v13, v15 dst_sel:DWORD dst_unused:UNUSED_PAD src0_sel:WORD_1 src1_sel:DWORD
	v_fma_f16 v12, v13, v15, -v17
	s_waitcnt vmcnt(1)
	v_lshrrev_b32_e32 v15, 16, v5
	s_waitcnt vmcnt(0)
	v_mul_f16_sdwa v16, v0, v5 dst_sel:DWORD dst_unused:UNUSED_PAD src0_sel:WORD_1 src1_sel:DWORD
	ds_write2_b32 v1, v3, v7 offset0:1 offset1:241
	v_mul_f16_sdwa v7, v0, v15 dst_sel:DWORD dst_unused:UNUSED_PAD src0_sel:WORD_1 src1_sel:DWORD
	v_pack_b32_f16 v1, v8, v9
	v_fma_f16 v3, v13, v11, v10
	v_fma_f16 v8, v0, v15, -v16
	v_fma_f16 v0, v0, v5, v7
	v_pack_b32_f16 v3, v3, v12
	v_pack_b32_f16 v0, v0, v8
	ds_write2_b32 v14, v1, v3 offset0:1 offset1:241
	ds_write_b32 v68, v0 offset:4740
.LBB0_3:
	s_or_b64 exec, exec, s[18:19]
	v_add_u32_e32 v3, 0x600, v68
	v_add_u32_e32 v5, 0xe00, v68
	s_waitcnt lgkmcnt(0)
	s_barrier
	ds_read2_b32 v[8:9], v68 offset1:75
	ds_read2_b32 v[0:1], v68 offset0:150 offset1:240
	ds_read2_b32 v[10:11], v3 offset0:96 offset1:171
	;; [unrolled: 1-line block ×6, first 2 shown]
	ds_read_b32 v20, v68 offset:4440
                                        ; implicit-def: $vgpr17
                                        ; implicit-def: $vgpr15
                                        ; implicit-def: $vgpr19
	s_and_saveexec_b64 s[14:15], s[0:1]
	s_cbranch_execz .LBB0_5
; %bb.4:
	v_add_u32_e32 v14, 0x380, v68
	v_add_u32_e32 v16, 0xb00, v68
	ds_read2_b32 v[14:15], v14 offset0:1 offset1:241
	ds_read2_b32 v[17:18], v16 offset0:1 offset1:241
	ds_read_b32 v19, v68 offset:4740
.LBB0_5:
	s_or_b64 exec, exec, s[14:15]
	s_load_dwordx2 s[14:15], s[4:5], 0x8
	s_waitcnt lgkmcnt(0)
	v_pk_add_f16 v24, v15, v19 neg_lo:[0,1] neg_hi:[0,1]
	v_pk_add_f16 v16, v15, v14
	v_pk_add_f16 v29, v17, v18
	s_movk_i32 s4, 0x3b9c
	v_pk_add_f16 v25, v17, v18 neg_lo:[0,1] neg_hi:[0,1]
	v_pk_add_f16 v26, v15, v19
	v_pk_add_f16 v27, v17, v15 neg_lo:[0,1] neg_hi:[0,1]
	v_pk_add_f16 v16, v17, v16
	v_pk_fma_f16 v29, v29, 0.5, v14 op_sel_hi:[1,0,1] neg_lo:[1,0,0] neg_hi:[1,0,0]
	v_pk_mul_f16 v30, v24, s4 op_sel_hi:[1,0]
	s_movk_i32 s5, 0x38b4
	v_pk_add_f16 v15, v15, v17 neg_lo:[0,1] neg_hi:[0,1]
	v_pk_add_f16 v17, v19, v18 neg_lo:[0,1] neg_hi:[0,1]
	v_pk_add_f16 v28, v18, v19 neg_lo:[0,1] neg_hi:[0,1]
	v_pk_add_f16 v16, v18, v16
	v_pk_mul_f16 v34, v25, s5 op_sel_hi:[1,0]
	v_pk_add_f16 v15, v15, v17
	v_pk_add_f16 v17, v29, v30 op_sel:[0,1] op_sel_hi:[1,0] neg_lo:[0,1] neg_hi:[0,1]
	v_pk_add_f16 v18, v29, v30 op_sel:[0,1] op_sel_hi:[1,0]
	v_pk_add_f16 v17, v17, v34 op_sel:[0,1] op_sel_hi:[1,0] neg_lo:[0,1] neg_hi:[0,1]
	s_mov_b32 s12, 0xffff
	v_pk_add_f16 v18, v18, v34 op_sel:[0,1] op_sel_hi:[1,0]
	v_pk_add_f16 v16, v19, v16
	v_bfi_b32 v19, s12, v17, v18
	v_bfi_b32 v17, s12, v18, v17
	s_movk_i32 s16, 0x34f2
	v_pk_fma_f16 v17, v15, s16, v17 op_sel_hi:[1,0,1]
	v_pk_fma_f16 v30, v15, s16, v19 op_sel_hi:[1,0,1]
	v_pk_fma_f16 v14, v26, 0.5, v14 op_sel_hi:[1,0,1] neg_lo:[1,0,0] neg_hi:[1,0,0]
	v_pk_mul_f16 v15, v25, s4 op_sel_hi:[1,0]
	v_pk_add_f16 v18, v14, v15 op_sel:[0,1] op_sel_hi:[1,0] neg_lo:[0,1] neg_hi:[0,1]
	v_pk_mul_f16 v19, v24, s5 op_sel_hi:[1,0]
	v_pk_add_f16 v14, v15, v14 op_sel:[1,0] op_sel_hi:[0,1]
	v_pk_add_f16 v24, v27, v28
	v_pk_add_f16 v14, v14, v19 op_sel:[0,1] op_sel_hi:[1,0] neg_lo:[0,1] neg_hi:[0,1]
	v_pk_add_f16 v21, v8, v1
	v_pk_add_f16 v18, v19, v18 op_sel:[1,0] op_sel_hi:[0,1]
	v_pk_fma_f16 v19, v24, s16, v14 op_sel_hi:[1,0,1]
	v_mul_lo_u16_e32 v14, 5, v82
	v_lshl_add_u32 v87, v14, 2, v86
	v_pk_add_f16 v14, v21, v10
	v_pk_add_f16 v15, v10, v3
	v_pk_add_f16 v21, v1, v12 neg_lo:[0,1] neg_hi:[0,1]
	v_pk_fma_f16 v18, v24, s16, v18 op_sel_hi:[1,0,1]
	v_pk_fma_f16 v15, v15, 0.5, v8 op_sel_hi:[1,0,1] neg_lo:[1,0,0] neg_hi:[1,0,0]
	v_pk_mul_f16 v24, v21, s4 op_sel_hi:[1,0]
	v_pk_add_f16 v25, v10, v3 neg_lo:[0,1] neg_hi:[0,1]
	v_pk_add_f16 v27, v1, v10 neg_lo:[0,1] neg_hi:[0,1]
	;; [unrolled: 1-line block ×3, first 2 shown]
	v_pk_mul_f16 v26, v25, s5 op_sel_hi:[1,0]
	v_pk_add_f16 v27, v27, v28
	v_pk_add_f16 v28, v15, v24 op_sel:[0,1] op_sel_hi:[1,0]
	v_pk_add_f16 v15, v15, v24 op_sel:[0,1] op_sel_hi:[1,0] neg_lo:[0,1] neg_hi:[0,1]
	v_pk_add_f16 v24, v28, v26 op_sel:[0,1] op_sel_hi:[1,0]
	v_pk_add_f16 v15, v15, v26 op_sel:[0,1] op_sel_hi:[1,0] neg_lo:[0,1] neg_hi:[0,1]
	v_pk_add_f16 v14, v14, v3
	v_bfi_b32 v26, s12, v24, v15
	v_pk_add_f16 v14, v14, v12
	v_pk_fma_f16 v26, v27, s16, v26 op_sel_hi:[1,0,1]
	s_barrier
	ds_write2_b32 v87, v14, v26 offset1:1
	v_pk_add_f16 v14, v1, v12
	v_pk_add_f16 v1, v10, v1 neg_lo:[0,1] neg_hi:[0,1]
	v_pk_add_f16 v3, v3, v12 neg_lo:[0,1] neg_hi:[0,1]
	v_pk_fma_f16 v8, v14, 0.5, v8 op_sel_hi:[1,0,1] neg_lo:[1,0,0] neg_hi:[1,0,0]
	v_pk_add_f16 v1, v1, v3
	v_pk_mul_f16 v3, v25, s4 op_sel_hi:[1,0]
	v_pk_mul_f16 v10, v21, s5 op_sel_hi:[1,0]
	v_pk_add_f16 v12, v8, v3 op_sel:[0,1] op_sel_hi:[1,0] neg_lo:[0,1] neg_hi:[0,1]
	v_pk_add_f16 v3, v8, v3 op_sel:[0,1] op_sel_hi:[1,0]
	v_pk_add_f16 v8, v12, v10 op_sel:[0,1] op_sel_hi:[1,0]
	v_pk_add_f16 v3, v3, v10 op_sel:[0,1] op_sel_hi:[1,0] neg_lo:[0,1] neg_hi:[0,1]
	v_bfi_b32 v10, s12, v8, v3
	v_bfi_b32 v3, s12, v3, v8
	v_pk_fma_f16 v10, v1, s16, v10 op_sel_hi:[1,0,1]
	v_pk_fma_f16 v1, v1, s16, v3 op_sel_hi:[1,0,1]
	ds_write2_b32 v87, v10, v1 offset0:2 offset1:3
	v_bfi_b32 v1, s12, v15, v24
	v_pk_add_f16 v3, v11, v6
	v_pk_add_f16 v8, v4, v13 neg_lo:[0,1] neg_hi:[0,1]
	v_add_co_u32_e32 v38, vcc, 0x4b, v82
	v_pk_fma_f16 v1, v27, s16, v1 op_sel_hi:[1,0,1]
	v_pk_fma_f16 v3, v3, 0.5, v9 op_sel_hi:[1,0,1] neg_lo:[1,0,0] neg_hi:[1,0,0]
	v_pk_mul_f16 v10, v8, s4 op_sel_hi:[1,0]
	v_pk_add_f16 v12, v11, v6 neg_lo:[0,1] neg_hi:[0,1]
	v_pk_add_f16 v15, v4, v11 neg_lo:[0,1] neg_hi:[0,1]
	;; [unrolled: 1-line block ×3, first 2 shown]
	v_pk_add_f16 v22, v9, v4
	ds_write_b32 v87, v1 offset:16
	v_mul_u32_u24_e32 v1, 5, v38
	v_pk_mul_f16 v14, v12, s5 op_sel_hi:[1,0]
	v_pk_add_f16 v15, v15, v21
	v_pk_add_f16 v21, v3, v10 op_sel:[0,1] op_sel_hi:[1,0]
	v_pk_add_f16 v3, v3, v10 op_sel:[0,1] op_sel_hi:[1,0] neg_lo:[0,1] neg_hi:[0,1]
	v_lshl_add_u32 v88, v1, 2, v86
	v_pk_add_f16 v1, v22, v11
	v_pk_add_f16 v10, v21, v14 op_sel:[0,1] op_sel_hi:[1,0]
	v_pk_add_f16 v3, v3, v14 op_sel:[0,1] op_sel_hi:[1,0] neg_lo:[0,1] neg_hi:[0,1]
	v_pk_add_f16 v1, v1, v6
	v_bfi_b32 v14, s12, v10, v3
	v_pk_add_f16 v1, v1, v13
	v_pk_fma_f16 v14, v15, s16, v14 op_sel_hi:[1,0,1]
	ds_write2_b32 v88, v1, v14 offset1:1
	v_pk_add_f16 v1, v4, v13
	v_pk_add_f16 v4, v11, v4 neg_lo:[0,1] neg_hi:[0,1]
	v_pk_add_f16 v6, v6, v13 neg_lo:[0,1] neg_hi:[0,1]
	v_pk_fma_f16 v1, v1, 0.5, v9 op_sel_hi:[1,0,1] neg_lo:[1,0,0] neg_hi:[1,0,0]
	v_pk_add_f16 v4, v4, v6
	v_pk_mul_f16 v6, v12, s4 op_sel_hi:[1,0]
	v_pk_mul_f16 v8, v8, s5 op_sel_hi:[1,0]
	v_pk_add_f16 v9, v1, v6 op_sel:[0,1] op_sel_hi:[1,0] neg_lo:[0,1] neg_hi:[0,1]
	v_pk_add_f16 v1, v1, v6 op_sel:[0,1] op_sel_hi:[1,0]
	v_pk_add_f16 v6, v9, v8 op_sel:[0,1] op_sel_hi:[1,0]
	v_pk_add_f16 v1, v1, v8 op_sel:[0,1] op_sel_hi:[1,0] neg_lo:[0,1] neg_hi:[0,1]
	v_bfi_b32 v8, s12, v6, v1
	v_bfi_b32 v1, s12, v1, v6
	v_pk_fma_f16 v8, v4, s16, v8 op_sel_hi:[1,0,1]
	v_pk_fma_f16 v1, v4, s16, v1 op_sel_hi:[1,0,1]
	ds_write2_b32 v88, v8, v1 offset0:2 offset1:3
	v_bfi_b32 v1, s12, v3, v10
	v_pk_add_f16 v3, v2, v7
	v_pk_add_f16 v4, v5, v20 neg_lo:[0,1] neg_hi:[0,1]
	v_add_co_u32_e32 v46, vcc, 0x96, v82
	v_pk_fma_f16 v1, v15, s16, v1 op_sel_hi:[1,0,1]
	v_pk_fma_f16 v3, v3, 0.5, v0 op_sel_hi:[1,0,1] neg_lo:[1,0,0] neg_hi:[1,0,0]
	v_pk_mul_f16 v6, v4, s4 op_sel_hi:[1,0]
	v_pk_add_f16 v8, v2, v7 neg_lo:[0,1] neg_hi:[0,1]
	v_pk_add_f16 v10, v5, v2 neg_lo:[0,1] neg_hi:[0,1]
	;; [unrolled: 1-line block ×3, first 2 shown]
	v_pk_add_f16 v23, v0, v5
	ds_write_b32 v88, v1 offset:16
	v_mul_u32_u24_e32 v1, 5, v46
	v_pk_mul_f16 v9, v8, s5 op_sel_hi:[1,0]
	v_pk_add_f16 v10, v10, v11
	v_pk_add_f16 v11, v3, v6 op_sel:[0,1] op_sel_hi:[1,0]
	v_pk_add_f16 v3, v3, v6 op_sel:[0,1] op_sel_hi:[1,0] neg_lo:[0,1] neg_hi:[0,1]
	v_lshl_add_u32 v89, v1, 2, v86
	v_pk_add_f16 v1, v23, v2
	v_pk_add_f16 v6, v11, v9 op_sel:[0,1] op_sel_hi:[1,0]
	v_pk_add_f16 v3, v3, v9 op_sel:[0,1] op_sel_hi:[1,0] neg_lo:[0,1] neg_hi:[0,1]
	v_pk_add_f16 v1, v1, v7
	v_bfi_b32 v9, s12, v6, v3
	v_pk_add_f16 v1, v1, v20
	v_pk_fma_f16 v9, v10, s16, v9 op_sel_hi:[1,0,1]
	ds_write2_b32 v89, v1, v9 offset1:1
	v_pk_add_f16 v1, v5, v20
	v_pk_fma_f16 v0, v1, 0.5, v0 op_sel_hi:[1,0,1] neg_lo:[1,0,0] neg_hi:[1,0,0]
	v_pk_add_f16 v1, v2, v5 neg_lo:[0,1] neg_hi:[0,1]
	v_pk_add_f16 v2, v7, v20 neg_lo:[0,1] neg_hi:[0,1]
	v_pk_add_f16 v1, v1, v2
	v_pk_mul_f16 v2, v8, s4 op_sel_hi:[1,0]
	v_pk_mul_f16 v4, v4, s5 op_sel_hi:[1,0]
	v_pk_add_f16 v5, v0, v2 op_sel:[0,1] op_sel_hi:[1,0] neg_lo:[0,1] neg_hi:[0,1]
	v_pk_add_f16 v0, v0, v2 op_sel:[0,1] op_sel_hi:[1,0]
	v_pk_add_f16 v2, v5, v4 op_sel:[0,1] op_sel_hi:[1,0]
	v_pk_add_f16 v0, v0, v4 op_sel:[0,1] op_sel_hi:[1,0] neg_lo:[0,1] neg_hi:[0,1]
	v_bfi_b32 v4, s12, v2, v0
	v_bfi_b32 v0, s12, v0, v2
	v_pk_fma_f16 v4, v1, s16, v4 op_sel_hi:[1,0,1]
	v_pk_fma_f16 v0, v1, s16, v0 op_sel_hi:[1,0,1]
	v_add_co_u32_e32 v45, vcc, 0xe1, v82
	ds_write2_b32 v89, v4, v0 offset0:2 offset1:3
	v_bfi_b32 v0, s12, v3, v6
	v_lshrrev_b32_e32 v39, 16, v18
	v_pk_fma_f16 v0, v10, s16, v0 op_sel_hi:[1,0,1]
	v_mul_u32_u24_e32 v90, 5, v45
	ds_write_b32 v89, v0 offset:16
	s_and_saveexec_b64 s[4:5], s[0:1]
	s_cbranch_execz .LBB0_7
; %bb.6:
	v_bfi_b32 v1, s12, v18, v19
	s_mov_b32 s12, 0x5040100
	v_lshl_add_u32 v0, v90, 2, v86
	v_perm_b32 v2, v39, v19, s12
	ds_write2_b32 v0, v16, v17 offset1:1
	ds_write2_b32 v0, v1, v2 offset0:2 offset1:3
	ds_write_b32 v0, v30 offset:16
.LBB0_7:
	s_or_b64 exec, exec, s[4:5]
	v_add_u32_e32 v0, 0x600, v68
	s_waitcnt lgkmcnt(0)
	s_barrier
	ds_read2_b32 v[22:23], v68 offset1:75
	ds_read2_b32 v[20:21], v68 offset0:150 offset1:240
	ds_read2_b32 v[34:35], v0 offset0:96 offset1:171
	v_add_u32_e32 v0, 0x800, v68
	ds_read2_b32 v[24:25], v0 offset0:118 offset1:208
	v_add_u32_e32 v0, 0xe00, v68
	;; [unrolled: 2-line block ×4, first 2 shown]
	ds_read2_b32 v[26:27], v0 offset0:27 offset1:102
	ds_read_b32 v41, v68 offset:4440
	v_lshrrev_b32_e32 v40, 16, v17
	s_and_saveexec_b64 s[4:5], s[0:1]
	s_cbranch_execz .LBB0_9
; %bb.8:
	v_add_u32_e32 v0, 0x380, v68
	ds_read2_b32 v[16:17], v0 offset0:1 offset1:241
	v_add_u32_e32 v0, 0xb00, v68
	ds_read2_b32 v[18:19], v0 offset0:1 offset1:241
	ds_read_b32 v30, v68 offset:4740
	s_mov_b32 s12, 0xffff
	s_waitcnt lgkmcnt(2)
	v_lshrrev_b32_e32 v40, 16, v17
	s_waitcnt lgkmcnt(1)
	v_lshrrev_b32_e32 v39, 16, v19
	v_bfi_b32 v19, s12, v19, v18
.LBB0_9:
	s_or_b64 exec, exec, s[4:5]
	s_movk_i32 s18, 0xcd
	v_mul_lo_u16_sdwa v0, v82, s18 dst_sel:DWORD dst_unused:UNUSED_PAD src0_sel:BYTE_0 src1_sel:DWORD
	v_lshrrev_b16_e32 v4, 10, v0
	v_mul_lo_u16_e32 v0, 5, v4
	v_sub_u16_e32 v5, v82, v0
	v_mov_b32_e32 v6, 4
	v_lshlrev_b32_sdwa v0, v6, v5 dst_sel:DWORD dst_unused:UNUSED_PAD src0_sel:DWORD src1_sel:BYTE_0
	global_load_dwordx4 v[0:3], v0, s[14:15]
	v_mul_lo_u16_sdwa v7, v38, s18 dst_sel:DWORD dst_unused:UNUSED_PAD src0_sel:BYTE_0 src1_sel:DWORD
	v_lshrrev_b16_e32 v49, 10, v7
	v_mul_lo_u16_e32 v7, 5, v49
	v_sub_u16_e32 v52, v38, v7
	v_lshlrev_b32_sdwa v7, v6, v52 dst_sel:DWORD dst_unused:UNUSED_PAD src0_sel:DWORD src1_sel:BYTE_0
	global_load_dwordx4 v[12:15], v7, s[14:15]
	s_mov_b32 s19, 0xcccd
	v_mul_lo_u16_sdwa v8, v46, s18 dst_sel:DWORD dst_unused:UNUSED_PAD src0_sel:BYTE_0 src1_sel:DWORD
	v_mul_u32_u24_sdwa v9, v45, s19 dst_sel:DWORD dst_unused:UNUSED_PAD src0_sel:WORD_0 src1_sel:DWORD
	v_lshrrev_b16_e32 v50, 10, v8
	v_lshrrev_b32_e32 v51, 18, v9
	v_mul_lo_u16_e32 v8, 5, v50
	v_mul_lo_u16_e32 v9, 5, v51
	v_mul_u32_u24_e32 v4, 25, v4
	v_sub_u16_e32 v53, v46, v8
	v_sub_u16_e32 v58, v45, v9
	v_add_u32_sdwa v4, v4, v5 dst_sel:DWORD dst_unused:UNUSED_PAD src0_sel:DWORD src1_sel:BYTE_0
	v_lshlrev_b32_sdwa v54, v6, v53 dst_sel:DWORD dst_unused:UNUSED_PAD src0_sel:DWORD src1_sel:BYTE_0
	v_lshlrev_b16_e32 v5, 2, v58
	v_lshlrev_b32_e32 v55, 2, v5
	v_lshl_add_u32 v91, v4, 2, v86
	global_load_dwordx4 v[8:11], v54, s[14:15]
	global_load_dwordx4 v[4:7], v55, s[14:15]
	s_waitcnt lgkmcnt(6)
	v_lshrrev_b32_e32 v43, 16, v21
	s_waitcnt lgkmcnt(5)
	v_lshrrev_b32_e32 v44, 16, v34
	;; [unrolled: 2-line block ×4, first 2 shown]
	v_lshrrev_b32_e32 v42, 16, v22
	s_movk_i32 s4, 0x3b9c
	s_mov_b32 s16, 0xbb9c
	s_movk_i32 s5, 0x38b4
	s_mov_b32 s17, 0xb8b4
	s_movk_i32 s12, 0x34f2
	s_waitcnt vmcnt(0) lgkmcnt(0)
	s_barrier
	v_mad_legacy_u16 v92, v51, 25, v58
	v_mul_f16_sdwa v54, v43, v0 dst_sel:DWORD dst_unused:UNUSED_PAD src0_sel:DWORD src1_sel:WORD_1
	v_mul_f16_sdwa v55, v21, v0 dst_sel:DWORD dst_unused:UNUSED_PAD src0_sel:DWORD src1_sel:WORD_1
	;; [unrolled: 1-line block ×8, first 2 shown]
	v_fma_f16 v21, v21, v0, -v54
	v_fma_f16 v43, v43, v0, v55
	v_fma_f16 v34, v34, v1, -v56
	v_fma_f16 v44, v44, v1, v57
	;; [unrolled: 2-line block ×4, first 2 shown]
	v_add_f16_e32 v54, v22, v21
	v_add_f16_e32 v55, v34, v25
	v_sub_f16_e32 v59, v21, v34
	v_sub_f16_e32 v60, v36, v25
	v_add_f16_e32 v61, v42, v43
	v_add_f16_e32 v62, v44, v47
	v_sub_f16_e32 v56, v43, v48
	v_sub_f16_e32 v63, v21, v36
	;; [unrolled: 1-line block ×6, first 2 shown]
	v_add_f16_e32 v59, v59, v60
	v_add_f16_e32 v34, v54, v34
	v_fma_f16 v54, v55, -0.5, v22
	v_add_f16_e32 v55, v61, v44
	v_fma_f16 v60, v62, -0.5, v42
	v_sub_f16_e32 v57, v44, v47
	v_sub_f16_e32 v85, v25, v36
	v_add_f16_e32 v61, v65, v66
	v_add_f16_e32 v25, v34, v25
	v_fma_f16 v34, v56, s4, v54
	v_add_f16_e32 v55, v55, v47
	v_fma_f16 v65, v63, s16, v60
	v_add_f16_e32 v21, v21, v36
	v_add_f16_e32 v25, v25, v36
	;; [unrolled: 1-line block ×3, first 2 shown]
	v_fma_f16 v34, v57, s5, v34
	v_fma_f16 v55, v64, s17, v65
	v_pack_b32_f16 v25, v25, v36
	v_fma_f16 v34, v59, s12, v34
	v_fma_f16 v36, v61, s12, v55
	v_pack_b32_f16 v34, v34, v36
	ds_write2_b32 v91, v25, v34 offset1:5
	v_add_f16_e32 v25, v43, v48
	v_fma_f16 v21, v21, -0.5, v22
	v_fma_f16 v25, v25, -0.5, v42
	v_sub_f16_e32 v34, v44, v43
	v_sub_f16_e32 v36, v47, v48
	v_fma_f16 v22, v57, s16, v21
	v_fma_f16 v21, v57, s4, v21
	v_add_f16_e32 v34, v34, v36
	v_fma_f16 v36, v64, s4, v25
	v_fma_f16 v25, v64, s16, v25
	v_add_f16_e32 v62, v67, v85
	v_fma_f16 v22, v56, s5, v22
	v_fma_f16 v21, v56, s17, v21
	;; [unrolled: 1-line block ×8, first 2 shown]
	v_pack_b32_f16 v22, v22, v36
	v_pack_b32_f16 v21, v21, v25
	ds_write2_b32 v91, v22, v21 offset0:10 offset1:15
	v_lshrrev_b32_e32 v21, 16, v35
	v_mul_f16_sdwa v22, v21, v13 dst_sel:DWORD dst_unused:UNUSED_PAD src0_sel:DWORD src1_sel:WORD_1
	v_fma_f16 v34, v35, v13, -v22
	v_mul_f16_sdwa v22, v35, v13 dst_sel:DWORD dst_unused:UNUSED_PAD src0_sel:DWORD src1_sel:WORD_1
	v_fma_f16 v35, v21, v13, v22
	v_lshrrev_b32_e32 v21, 16, v37
	v_mul_f16_sdwa v22, v21, v15 dst_sel:DWORD dst_unused:UNUSED_PAD src0_sel:DWORD src1_sel:WORD_1
	v_fma_f16 v36, v37, v15, -v22
	v_mul_f16_sdwa v22, v37, v15 dst_sel:DWORD dst_unused:UNUSED_PAD src0_sel:DWORD src1_sel:WORD_1
	v_fma_f16 v37, v21, v15, v22
	v_lshrrev_b32_e32 v21, 16, v28
	v_mul_f16_sdwa v22, v28, v12 dst_sel:DWORD dst_unused:UNUSED_PAD src0_sel:DWORD src1_sel:WORD_1
	v_fma_f16 v42, v21, v12, v22
	v_mul_f16_sdwa v21, v21, v12 dst_sel:DWORD dst_unused:UNUSED_PAD src0_sel:DWORD src1_sel:WORD_1
	v_fma_f16 v28, v28, v12, -v21
	v_lshrrev_b32_e32 v21, 16, v29
	v_mul_f16_sdwa v22, v21, v8 dst_sel:DWORD dst_unused:UNUSED_PAD src0_sel:DWORD src1_sel:WORD_1
	v_fma_f16 v43, v29, v8, -v22
	v_mul_f16_sdwa v22, v29, v8 dst_sel:DWORD dst_unused:UNUSED_PAD src0_sel:DWORD src1_sel:WORD_1
	v_fma_f16 v29, v21, v8, v22
	v_lshrrev_b32_e32 v21, 16, v24
	v_mul_f16_sdwa v22, v21, v9 dst_sel:DWORD dst_unused:UNUSED_PAD src0_sel:DWORD src1_sel:WORD_1
	v_fma_f16 v44, v24, v9, -v22
	v_mul_f16_sdwa v22, v24, v9 dst_sel:DWORD dst_unused:UNUSED_PAD src0_sel:DWORD src1_sel:WORD_1
	v_fma_f16 v47, v21, v9, v22
	v_lshrrev_b32_e32 v21, 16, v26
	v_mul_f16_sdwa v22, v26, v14 dst_sel:DWORD dst_unused:UNUSED_PAD src0_sel:DWORD src1_sel:WORD_1
	v_fma_f16 v48, v21, v14, v22
	v_mul_f16_sdwa v21, v21, v14 dst_sel:DWORD dst_unused:UNUSED_PAD src0_sel:DWORD src1_sel:WORD_1
	v_fma_f16 v26, v26, v14, -v21
	v_lshrrev_b32_e32 v21, 16, v27
	v_mul_f16_sdwa v22, v21, v10 dst_sel:DWORD dst_unused:UNUSED_PAD src0_sel:DWORD src1_sel:WORD_1
	v_fma_f16 v55, v27, v10, -v22
	v_mul_f16_sdwa v22, v27, v10 dst_sel:DWORD dst_unused:UNUSED_PAD src0_sel:DWORD src1_sel:WORD_1
	v_fma_f16 v27, v21, v10, v22
	v_lshrrev_b32_e32 v21, 16, v41
	v_mul_f16_sdwa v22, v21, v11 dst_sel:DWORD dst_unused:UNUSED_PAD src0_sel:DWORD src1_sel:WORD_1
	v_fma_f16 v62, v41, v11, -v22
	v_mul_f16_sdwa v22, v41, v11 dst_sel:DWORD dst_unused:UNUSED_PAD src0_sel:DWORD src1_sel:WORD_1
	v_fma_f16 v41, v21, v11, v22
	;; [unrolled: 5-line block ×3, first 2 shown]
	v_mul_f16_sdwa v18, v39, v6 dst_sel:DWORD dst_unused:UNUSED_PAD src0_sel:DWORD src1_sel:WORD_1
	v_fma_f16 v18, v19, v6, -v18
	v_mul_f16_sdwa v19, v19, v6 dst_sel:DWORD dst_unused:UNUSED_PAD src0_sel:DWORD src1_sel:WORD_1
	v_lshrrev_b32_e32 v25, 16, v30
	v_fma_f16 v24, v39, v6, v19
	v_mul_f16_sdwa v19, v25, v7 dst_sel:DWORD dst_unused:UNUSED_PAD src0_sel:DWORD src1_sel:WORD_1
	v_fma_f16 v19, v30, v7, -v19
	v_mul_f16_sdwa v30, v30, v7 dst_sel:DWORD dst_unused:UNUSED_PAD src0_sel:DWORD src1_sel:WORD_1
	v_fma_f16 v25, v25, v7, v30
	v_fma_f16 v30, v56, s16, v54
	;; [unrolled: 1-line block ×5, first 2 shown]
	v_add_f16_e32 v54, v34, v26
	v_add_f16_e32 v56, v28, v36
	v_sub_f16_e32 v59, v28, v34
	v_sub_f16_e32 v60, v36, v26
	v_fma_f16 v39, v64, s5, v39
	v_fma_f16 v54, v54, -0.5, v23
	v_fma_f16 v56, v56, -0.5, v23
	v_lshrrev_b32_e32 v57, 16, v23
	v_add_f16_e32 v23, v23, v28
	v_add_f16_e32 v59, v59, v60
	v_sub_f16_e32 v60, v42, v37
	v_fma_f16 v39, v61, s12, v39
	v_fma_f16 v61, v60, s4, v54
	v_sub_f16_e32 v63, v35, v48
	v_fma_f16 v54, v60, s16, v54
	v_add_f16_e32 v23, v23, v34
	v_fma_f16 v61, v63, s5, v61
	v_fma_f16 v54, v63, s17, v54
	v_add_f16_e32 v23, v23, v26
	v_fma_f16 v61, v59, s12, v61
	v_fma_f16 v59, v59, s12, v54
	v_sub_f16_e32 v54, v34, v28
	v_sub_f16_e32 v64, v26, v36
	v_add_f16_e32 v23, v23, v36
	v_sub_f16_e32 v28, v28, v36
	v_sub_f16_e32 v26, v34, v26
	;; [unrolled: 1-line block ×4, first 2 shown]
	v_add_f16_e32 v54, v54, v64
	v_fma_f16 v64, v63, s16, v56
	v_fma_f16 v56, v63, s4, v56
	v_add_f16_e32 v34, v34, v36
	v_add_f16_e32 v36, v35, v48
	v_fma_f16 v63, v60, s5, v64
	v_fma_f16 v56, v60, s17, v56
	v_fma_f16 v36, v36, -0.5, v57
	v_fma_f16 v60, v54, s12, v63
	v_fma_f16 v56, v54, s12, v56
	;; [unrolled: 1-line block ×6, first 2 shown]
	v_add_f16_e32 v54, v57, v42
	v_fma_f16 v36, v26, s5, v36
	v_add_f16_e32 v54, v54, v35
	v_fma_f16 v34, v34, s12, v36
	v_add_f16_e32 v36, v42, v37
	v_sub_f16_e32 v35, v35, v42
	v_add_f16_e32 v42, v54, v48
	v_fma_f16 v36, v36, -0.5, v57
	v_add_f16_e32 v42, v42, v37
	v_sub_f16_e32 v37, v48, v37
	v_add_f16_e32 v35, v35, v37
	v_fma_f16 v37, v26, s4, v36
	v_fma_f16 v26, v26, s16, v36
	;; [unrolled: 1-line block ×6, first 2 shown]
	v_add_f16_e32 v35, v44, v55
	v_sub_f16_e32 v48, v43, v44
	v_sub_f16_e32 v54, v62, v55
	v_fma_f16 v35, v35, -0.5, v20
	v_add_f16_e32 v48, v48, v54
	v_sub_f16_e32 v54, v29, v41
	v_fma_f16 v57, v54, s4, v35
	v_sub_f16_e32 v64, v47, v27
	v_fma_f16 v35, v54, s16, v35
	v_add_f16_e32 v36, v43, v62
	v_fma_f16 v57, v64, s5, v57
	v_fma_f16 v35, v64, s17, v35
	v_fma_f16 v36, v36, -0.5, v20
	v_lshrrev_b32_e32 v37, 16, v20
	v_add_f16_e32 v20, v20, v43
	v_fma_f16 v65, v48, s12, v57
	v_fma_f16 v35, v48, s12, v35
	v_sub_f16_e32 v48, v44, v43
	v_sub_f16_e32 v57, v55, v62
	v_add_f16_e32 v48, v48, v57
	v_fma_f16 v57, v64, s16, v36
	v_fma_f16 v36, v64, s4, v36
	v_add_f16_e32 v20, v20, v44
	v_fma_f16 v57, v54, s5, v57
	v_fma_f16 v36, v54, s17, v36
	;; [unrolled: 3-line block ×3, first 2 shown]
	v_add_f16_e32 v48, v20, v62
	v_sub_f16_e32 v20, v43, v62
	v_sub_f16_e32 v43, v44, v55
	;; [unrolled: 1-line block ×4, first 2 shown]
	v_add_f16_e32 v44, v44, v54
	v_add_f16_e32 v54, v47, v27
	v_fma_f16 v54, v54, -0.5, v37
	v_fma_f16 v55, v20, s16, v54
	v_fma_f16 v54, v20, s4, v54
	;; [unrolled: 1-line block ×6, first 2 shown]
	v_add_f16_e32 v54, v29, v41
	v_fma_f16 v54, v54, -0.5, v37
	v_add_f16_e32 v37, v37, v29
	v_add_f16_e32 v37, v37, v47
	v_sub_f16_e32 v29, v47, v29
	v_add_f16_e32 v37, v37, v27
	v_sub_f16_e32 v27, v27, v41
	v_add_f16_e32 v37, v37, v41
	v_add_f16_e32 v27, v29, v27
	v_fma_f16 v29, v43, s4, v54
	v_fma_f16 v41, v43, s16, v54
	;; [unrolled: 1-line block ×6, first 2 shown]
	v_mul_f16_sdwa v20, v17, v4 dst_sel:DWORD dst_unused:UNUSED_PAD src0_sel:DWORD src1_sel:WORD_1
	v_fma_f16 v20, v40, v4, v20
	v_mul_f16_sdwa v40, v40, v4 dst_sel:DWORD dst_unused:UNUSED_PAD src0_sel:DWORD src1_sel:WORD_1
	v_fma_f16 v17, v17, v4, -v40
	v_sub_f16_e32 v40, v17, v21
	v_sub_f16_e32 v41, v19, v18
	v_pack_b32_f16 v30, v30, v39
	v_add_f16_e32 v40, v40, v41
	v_add_f16_e32 v41, v21, v18
	ds_write_b32 v91, v30 offset:80
	v_mul_u32_u24_e32 v30, 25, v49
	v_fma_f16 v41, v41, -0.5, v16
	v_sub_f16_e32 v43, v20, v25
	v_add_u32_sdwa v30, v30, v52 dst_sel:DWORD dst_unused:UNUSED_PAD src0_sel:DWORD src1_sel:BYTE_0
	v_fma_f16 v47, v43, s4, v41
	v_sub_f16_e32 v55, v22, v24
	v_fma_f16 v41, v43, s16, v41
	v_pack_b32_f16 v23, v23, v42
	v_pack_b32_f16 v39, v61, v63
	v_lshl_add_u32 v93, v30, 2, v86
	v_fma_f16 v47, v55, s5, v47
	v_fma_f16 v41, v55, s17, v41
	ds_write2_b32 v93, v23, v39 offset1:5
	v_add_f16_e32 v30, v22, v24
	v_lshrrev_b32_e32 v23, 16, v16
	v_pack_b32_f16 v28, v60, v28
	v_pack_b32_f16 v26, v56, v26
	v_fma_f16 v54, v40, s12, v47
	v_fma_f16 v96, v40, s12, v41
	v_sub_f16_e32 v40, v21, v17
	v_sub_f16_e32 v41, v18, v19
	v_fma_f16 v30, v30, -0.5, v23
	v_sub_f16_e32 v39, v17, v19
	ds_write2_b32 v93, v28, v26 offset0:10 offset1:15
	v_sub_f16_e32 v26, v20, v22
	v_sub_f16_e32 v28, v25, v24
	v_add_f16_e32 v40, v40, v41
	v_add_f16_e32 v41, v17, v19
	v_fma_f16 v42, v39, s16, v30
	v_add_f16_e32 v26, v26, v28
	v_sub_f16_e32 v28, v21, v18
	v_fma_f16 v30, v39, s4, v30
	v_fma_f16 v41, v41, -0.5, v16
	v_fma_f16 v42, v28, s17, v42
	v_fma_f16 v30, v28, s5, v30
	;; [unrolled: 1-line block ×6, first 2 shown]
	v_sub_f16_e32 v26, v22, v20
	v_sub_f16_e32 v30, v24, v25
	v_add_f16_e32 v26, v26, v30
	v_add_f16_e32 v30, v20, v25
	v_fma_f16 v30, v30, -0.5, v23
	v_fma_f16 v42, v28, s4, v30
	v_fma_f16 v28, v28, s16, v30
	;; [unrolled: 1-line block ×6, first 2 shown]
	v_pack_b32_f16 v26, v59, v34
	ds_write_b32 v93, v26 offset:80
	v_mul_u32_u24_e32 v26, 25, v50
	v_add_u32_sdwa v26, v26, v53 dst_sel:DWORD dst_unused:UNUSED_PAD src0_sel:DWORD src1_sel:BYTE_0
	v_lshl_add_u32 v94, v26, 2, v86
	v_pack_b32_f16 v26, v48, v37
	v_pack_b32_f16 v28, v65, v62
	v_fma_f16 v47, v43, s5, v47
	v_fma_f16 v41, v43, s17, v41
	ds_write2_b32 v94, v26, v28 offset1:5
	v_pack_b32_f16 v26, v64, v29
	v_pack_b32_f16 v27, v36, v27
	v_fma_f16 v56, v40, s12, v47
	v_fma_f16 v47, v40, s12, v41
	ds_write2_b32 v94, v26, v27 offset0:10 offset1:15
	v_pack_b32_f16 v26, v35, v44
	ds_write_b32 v94, v26 offset:80
	s_and_saveexec_b64 s[4:5], s[0:1]
	s_cbranch_execz .LBB0_11
; %bb.10:
	v_add_f16_e32 v20, v23, v20
	v_add_f16_e32 v16, v16, v17
	;; [unrolled: 1-line block ×8, first 2 shown]
	s_mov_b32 s12, 0x5040100
	v_lshl_add_u32 v17, v92, 2, v86
	v_pack_b32_f16 v16, v16, v20
	v_perm_b32 v18, v55, v54, s12
	ds_write2_b32 v17, v16, v18 offset1:5
	v_perm_b32 v16, v57, v56, s12
	v_perm_b32 v18, v98, v47, s12
	ds_write2_b32 v17, v16, v18 offset0:10 offset1:15
	v_perm_b32 v16, v97, v96, s12
	ds_write_b32 v17, v16 offset:80
.LBB0_11:
	s_or_b64 exec, exec, s[4:5]
	v_add_u32_e32 v16, 0xa00, v68
	s_waitcnt lgkmcnt(0)
	s_barrier
	ds_read2_b32 v[29:30], v16 offset0:110 offset1:185
	v_add_u32_e32 v16, 0x1000, v68
	ds_read2_b32 v[39:40], v16 offset0:26 offset1:101
	v_mov_b32_e32 v16, 41
	v_mul_lo_u16_sdwa v16, v82, v16 dst_sel:DWORD dst_unused:UNUSED_PAD src0_sel:BYTE_0 src1_sel:DWORD
	v_lshrrev_b16_e32 v95, 10, v16
	v_mul_lo_u16_e32 v16, 25, v95
	v_sub_u16_e32 v16, v82, v16
	v_and_b32_e32 v99, 0xff, v16
	v_mad_u64_u32 v[41:42], s[4:5], v99, 60, s[14:15]
	ds_read2_b32 v[34:35], v68 offset1:75
	ds_read2_b32 v[20:21], v68 offset0:150 offset1:225
	global_load_dwordx4 v[16:19], v[41:42], off offset:80
	v_add_u32_e32 v49, 0x400, v68
	ds_read2_b32 v[23:24], v49 offset0:44 offset1:119
	s_waitcnt lgkmcnt(2)
	v_lshrrev_b32_e32 v22, 16, v35
	s_waitcnt lgkmcnt(1)
	v_lshrrev_b32_e32 v44, 16, v20
	v_lshrrev_b32_e32 v48, 16, v21
	v_add_u32_e32 v60, 0x600, v68
	s_waitcnt lgkmcnt(0)
	v_lshrrev_b32_e32 v50, 16, v23
	ds_read2_b32 v[25:26], v60 offset0:66 offset1:141
	v_lshrrev_b32_e32 v51, 16, v24
	v_add_u32_e32 v61, 0x800, v68
	ds_read2_b32 v[27:28], v61 offset0:88 offset1:163
	v_add_u32_e32 v64, 0xc00, v68
	s_waitcnt lgkmcnt(1)
	v_lshrrev_b32_e32 v52, 16, v25
	v_lshrrev_b32_e32 v53, 16, v26
	ds_read2_b32 v[36:37], v64 offset0:132 offset1:207
	s_waitcnt lgkmcnt(1)
	v_lshrrev_b32_e32 v58, 16, v27
	v_lshrrev_b32_e32 v59, 16, v28
	;; [unrolled: 1-line block ×4, first 2 shown]
	s_waitcnt lgkmcnt(0)
	v_lshrrev_b32_e32 v65, 16, v36
	v_lshrrev_b32_e32 v67, 16, v39
	;; [unrolled: 1-line block ×5, first 2 shown]
	s_mov_b32 s4, 0xb9a8
	s_movk_i32 s5, 0x39a8
	s_mov_b32 s12, 0xbb64
	s_movk_i32 s17, 0x361f
	;; [unrolled: 2-line block ×3, first 2 shown]
	s_waitcnt vmcnt(0)
	v_mul_f16_sdwa v100, v22, v16 dst_sel:DWORD dst_unused:UNUSED_PAD src0_sel:DWORD src1_sel:WORD_1
	v_fma_f16 v100, v35, v16, -v100
	v_mul_f16_sdwa v35, v35, v16 dst_sel:DWORD dst_unused:UNUSED_PAD src0_sel:DWORD src1_sel:WORD_1
	v_fma_f16 v35, v22, v16, v35
	v_mul_f16_sdwa v22, v44, v17 dst_sel:DWORD dst_unused:UNUSED_PAD src0_sel:DWORD src1_sel:WORD_1
	v_fma_f16 v101, v20, v17, -v22
	v_mul_f16_sdwa v20, v20, v17 dst_sel:DWORD dst_unused:UNUSED_PAD src0_sel:DWORD src1_sel:WORD_1
	v_fma_f16 v44, v44, v17, v20
	;; [unrolled: 4-line block ×4, first 2 shown]
	global_load_dwordx4 v[20:23], v[41:42], off offset:96
	s_waitcnt vmcnt(0)
	v_mul_f16_sdwa v104, v51, v20 dst_sel:DWORD dst_unused:UNUSED_PAD src0_sel:DWORD src1_sel:WORD_1
	v_fma_f16 v104, v24, v20, -v104
	v_mul_f16_sdwa v24, v24, v20 dst_sel:DWORD dst_unused:UNUSED_PAD src0_sel:DWORD src1_sel:WORD_1
	v_fma_f16 v51, v51, v20, v24
	v_mul_f16_sdwa v24, v52, v21 dst_sel:DWORD dst_unused:UNUSED_PAD src0_sel:DWORD src1_sel:WORD_1
	v_fma_f16 v105, v25, v21, -v24
	v_mul_f16_sdwa v24, v25, v21 dst_sel:DWORD dst_unused:UNUSED_PAD src0_sel:DWORD src1_sel:WORD_1
	v_fma_f16 v52, v52, v21, v24
	;; [unrolled: 4-line block ×4, first 2 shown]
	global_load_dwordx4 v[24:27], v[41:42], off offset:112
	v_sub_f16_e32 v58, v43, v58
	v_fma_f16 v43, v43, 2.0, -v58
	s_waitcnt vmcnt(0)
	v_mul_f16_sdwa v108, v59, v24 dst_sel:DWORD dst_unused:UNUSED_PAD src0_sel:DWORD src1_sel:WORD_1
	v_fma_f16 v108, v28, v24, -v108
	v_mul_f16_sdwa v28, v28, v24 dst_sel:DWORD dst_unused:UNUSED_PAD src0_sel:DWORD src1_sel:WORD_1
	v_fma_f16 v59, v59, v24, v28
	v_mul_f16_sdwa v28, v62, v25 dst_sel:DWORD dst_unused:UNUSED_PAD src0_sel:DWORD src1_sel:WORD_1
	v_fma_f16 v109, v29, v25, -v28
	v_mul_f16_sdwa v28, v29, v25 dst_sel:DWORD dst_unused:UNUSED_PAD src0_sel:DWORD src1_sel:WORD_1
	v_fma_f16 v62, v62, v25, v28
	;; [unrolled: 4-line block ×4, first 2 shown]
	global_load_dwordx3 v[28:30], v[41:42], off offset:128
	v_sub_f16_e32 v62, v44, v62
	v_sub_f16_e32 v36, v50, v36
	v_fma_f16 v50, v50, 2.0, -v36
	v_fma_f16 v44, v44, 2.0, -v62
	v_sub_f16_e32 v59, v35, v59
	v_sub_f16_e32 v63, v48, v63
	v_fma_f16 v35, v35, 2.0, -v59
	v_fma_f16 v48, v48, 2.0, -v63
	v_sub_f16_e32 v50, v43, v50
	v_fma_f16 v43, v43, 2.0, -v50
	s_waitcnt vmcnt(0)
	s_barrier
	v_mul_f16_sdwa v42, v67, v29 dst_sel:DWORD dst_unused:UNUSED_PAD src0_sel:DWORD src1_sel:WORD_1
	v_mul_f16_sdwa v41, v66, v28 dst_sel:DWORD dst_unused:UNUSED_PAD src0_sel:DWORD src1_sel:WORD_1
	v_fma_f16 v42, v39, v29, -v42
	v_mul_f16_sdwa v39, v39, v29 dst_sel:DWORD dst_unused:UNUSED_PAD src0_sel:DWORD src1_sel:WORD_1
	v_mul_f16_sdwa v65, v85, v30 dst_sel:DWORD dst_unused:UNUSED_PAD src0_sel:DWORD src1_sel:WORD_1
	v_fma_f16 v41, v37, v28, -v41
	v_mul_f16_sdwa v37, v37, v28 dst_sel:DWORD dst_unused:UNUSED_PAD src0_sel:DWORD src1_sel:WORD_1
	v_fma_f16 v39, v67, v29, v39
	v_fma_f16 v65, v40, v30, -v65
	v_mul_f16_sdwa v40, v40, v30 dst_sel:DWORD dst_unused:UNUSED_PAD src0_sel:DWORD src1_sel:WORD_1
	v_sub_f16_e32 v67, v103, v111
	v_sub_f16_e32 v42, v105, v42
	v_fma_f16 v37, v66, v28, v37
	v_fma_f16 v40, v85, v30, v40
	v_sub_f16_e32 v66, v34, v107
	v_fma_f16 v85, v103, 2.0, -v67
	v_sub_f16_e32 v103, v101, v109
	v_sub_f16_e32 v39, v52, v39
	v_fma_f16 v105, v105, 2.0, -v42
	v_add_f16_e32 v67, v58, v67
	v_add_f16_e32 v42, v62, v42
	v_fma_f16 v52, v52, 2.0, -v39
	v_sub_f16_e32 v41, v104, v41
	v_sub_f16_e32 v65, v106, v65
	;; [unrolled: 1-line block ×3, first 2 shown]
	v_fma_f16 v58, v58, 2.0, -v67
	v_sub_f16_e32 v39, v103, v39
	v_fma_f16 v62, v62, 2.0, -v42
	v_fma_f16 v34, v34, 2.0, -v66
	;; [unrolled: 1-line block ×3, first 2 shown]
	v_sub_f16_e32 v107, v100, v108
	v_sub_f16_e32 v37, v51, v37
	v_fma_f16 v104, v104, 2.0, -v41
	v_sub_f16_e32 v108, v102, v110
	v_sub_f16_e32 v40, v53, v40
	v_fma_f16 v106, v106, 2.0, -v65
	v_fma_f16 v66, v66, 2.0, -v36
	;; [unrolled: 1-line block ×3, first 2 shown]
	v_add_f16_e32 v41, v59, v41
	v_add_f16_e32 v65, v63, v65
	v_fma_f16 v110, v62, s4, v58
	v_fma_f16 v51, v51, 2.0, -v37
	v_fma_f16 v53, v53, 2.0, -v40
	v_sub_f16_e32 v37, v107, v37
	v_fma_f16 v59, v59, 2.0, -v41
	v_sub_f16_e32 v40, v108, v40
	v_fma_f16 v63, v63, 2.0, -v65
	v_fma_f16 v109, v103, s4, v66
	v_fma_f16 v103, v103, s5, v110
	;; [unrolled: 1-line block ×3, first 2 shown]
	v_fma_f16 v100, v100, 2.0, -v107
	v_fma_f16 v102, v102, 2.0, -v108
	;; [unrolled: 1-line block ×4, first 2 shown]
	v_fma_f16 v62, v62, s4, v109
	v_fma_f16 v109, v39, s5, v36
	;; [unrolled: 1-line block ×7, first 2 shown]
	v_sub_f16_e32 v85, v34, v85
	v_sub_f16_e32 v52, v44, v52
	;; [unrolled: 1-line block ×4, first 2 shown]
	v_fma_f16 v58, v58, 2.0, -v103
	v_fma_f16 v63, v63, s4, v109
	v_fma_f16 v59, v59, 2.0, -v108
	v_fma_f16 v110, v65, s5, v41
	v_sub_f16_e32 v105, v101, v105
	v_fma_f16 v44, v44, 2.0, -v52
	v_sub_f16_e32 v51, v35, v51
	v_sub_f16_e32 v106, v102, v106
	v_fma_f16 v48, v48, 2.0, -v53
	v_fma_f16 v66, v66, 2.0, -v62
	v_sub_f16_e32 v52, v85, v52
	v_fma_f16 v107, v107, 2.0, -v63
	v_sub_f16_e32 v53, v104, v53
	v_fma_f16 v109, v40, s5, v37
	v_fma_f16 v40, v40, s5, v110
	;; [unrolled: 1-line block ×3, first 2 shown]
	v_fma_f16 v34, v34, 2.0, -v85
	v_fma_f16 v101, v101, 2.0, -v105
	;; [unrolled: 1-line block ×4, first 2 shown]
	v_add_f16_e32 v105, v50, v105
	v_fma_f16 v85, v85, 2.0, -v52
	v_add_f16_e32 v106, v51, v106
	v_fma_f16 v104, v104, 2.0, -v53
	v_fma_f16 v65, v65, s4, v109
	v_fma_f16 v109, v107, s12, v66
	;; [unrolled: 1-line block ×3, first 2 shown]
	v_fma_f16 v35, v35, 2.0, -v51
	v_fma_f16 v50, v50, 2.0, -v105
	;; [unrolled: 1-line block ×6, first 2 shown]
	v_fma_f16 v58, v104, s4, v85
	v_fma_f16 v67, v67, 2.0, -v39
	v_fma_f16 v41, v41, 2.0, -v40
	v_fma_f16 v109, v59, s16, v109
	v_fma_f16 v59, v51, s4, v50
	;; [unrolled: 1-line block ×12, first 2 shown]
	v_sub_f16_e32 v101, v34, v101
	v_sub_f16_e32 v44, v43, v44
	;; [unrolled: 1-line block ×4, first 2 shown]
	v_fma_f16 v63, v63, s18, v59
	v_fma_f16 v59, v106, s5, v105
	;; [unrolled: 1-line block ×4, first 2 shown]
	v_fma_f16 v34, v34, 2.0, -v101
	v_fma_f16 v43, v43, 2.0, -v44
	;; [unrolled: 1-line block ×4, first 2 shown]
	v_fma_f16 v58, v40, s16, v58
	v_sub_f16_e32 v100, v34, v100
	v_sub_f16_e32 v35, v43, v35
	v_fma_f16 v53, v53, s5, v59
	v_fma_f16 v59, v40, s18, v39
	v_fma_f16 v40, v42, 2.0, -v58
	v_mul_u32_u24_e32 v42, 0x190, v95
	v_fma_f16 v34, v34, 2.0, -v100
	v_fma_f16 v43, v43, 2.0, -v35
	;; [unrolled: 1-line block ×3, first 2 shown]
	v_add_u32_e32 v42, v42, v99
	v_fma_f16 v85, v85, 2.0, -v51
	v_fma_f16 v50, v50, 2.0, -v104
	;; [unrolled: 1-line block ×4, first 2 shown]
	v_sub_f16_e32 v48, v101, v48
	v_add_f16_e32 v102, v44, v102
	v_lshl_add_u32 v95, v42, 2, v86
	v_pack_b32_f16 v34, v34, v43
	v_pack_b32_f16 v42, v66, v110
	v_fma_f16 v101, v101, 2.0, -v48
	v_fma_f16 v44, v44, 2.0, -v102
	v_fma_f16 v62, v62, 2.0, -v108
	v_fma_f16 v103, v103, 2.0, -v63
	v_fma_f16 v59, v65, s17, v59
	ds_write2_b32 v95, v34, v42 offset1:25
	v_pack_b32_f16 v34, v85, v50
	v_pack_b32_f16 v36, v36, v67
	v_fma_f16 v52, v52, 2.0, -v106
	v_fma_f16 v105, v105, 2.0, -v53
	;; [unrolled: 1-line block ×3, first 2 shown]
	ds_write2_b32 v95, v34, v36 offset0:50 offset1:75
	v_pack_b32_f16 v34, v101, v44
	v_pack_b32_f16 v36, v62, v103
	ds_write2_b32 v95, v34, v36 offset0:100 offset1:125
	v_pack_b32_f16 v34, v52, v105
	v_pack_b32_f16 v36, v40, v39
	;; [unrolled: 3-line block ×4, first 2 shown]
	v_add_u32_e32 v36, 0x200, v95
	ds_write2_b32 v36, v34, v35 offset0:122 offset1:147
	v_pack_b32_f16 v34, v48, v102
	v_pack_b32_f16 v35, v108, v63
	v_add_u32_e32 v36, 0x400, v95
	ds_write2_b32 v36, v34, v35 offset0:44 offset1:69
	v_pack_b32_f16 v34, v106, v53
	v_pack_b32_f16 v35, v58, v59
	ds_write2_b32 v36, v34, v35 offset0:94 offset1:119
	s_waitcnt lgkmcnt(0)
	s_barrier
	ds_read2_b32 v[52:53], v68 offset1:75
	ds_read2_b32 v[48:49], v49 offset0:44 offset1:144
	ds_read2_b32 v[39:40], v64 offset0:32 offset1:107
	ds_read2_b32 v[41:42], v60 offset0:91 offset1:166
	ds_read2_b32 v[50:51], v68 offset0:150 offset1:225
	v_add_u32_e32 v34, 0xe00, v68
	ds_read2_b32 v[43:44], v34 offset0:54 offset1:129
	ds_read2_b32 v[34:35], v61 offset0:113 offset1:188
	ds_read_b32 v60, v68 offset:4400
	v_cmp_gt_u16_e64 s[4:5], 25, v82
	s_and_saveexec_b64 s[16:17], s[4:5]
	s_cbranch_execz .LBB0_13
; %bb.12:
	ds_read_b32 v58, v68 offset:1500
	ds_read_b32 v54, v68 offset:3100
	ds_read_b32 v56, v68 offset:4700
	s_waitcnt lgkmcnt(2)
	v_lshrrev_b32_e32 v59, 16, v58
	s_waitcnt lgkmcnt(1)
	v_lshrrev_b32_e32 v55, 16, v54
	;; [unrolled: 2-line block ×3, first 2 shown]
.LBB0_13:
	s_or_b64 exec, exec, s[16:17]
	v_lshlrev_b32_e32 v61, 3, v82
	global_load_dwordx2 v[36:37], v61, s[14:15] offset:1580
	s_waitcnt lgkmcnt(6)
	v_lshrrev_b32_e32 v65, 16, v49
	s_waitcnt lgkmcnt(5)
	v_lshrrev_b32_e32 v66, 16, v39
	v_lshlrev_b32_e32 v38, 3, v38
	s_waitcnt lgkmcnt(4)
	v_lshrrev_b32_e32 v85, 16, v41
	v_lshrrev_b32_e32 v99, 16, v40
	;; [unrolled: 1-line block ×3, first 2 shown]
	s_waitcnt lgkmcnt(2)
	v_lshrrev_b32_e32 v102, 16, v43
	s_waitcnt lgkmcnt(1)
	v_lshrrev_b32_e32 v104, 16, v34
	v_lshrrev_b32_e32 v105, 16, v44
	;; [unrolled: 1-line block ×3, first 2 shown]
	s_waitcnt lgkmcnt(0)
	v_lshrrev_b32_e32 v108, 16, v60
	v_add_co_u32_e32 v62, vcc, 0x177, v82
	s_movk_i32 s12, 0xffe7
	v_addc_co_u32_e64 v63, s[16:17], 0, 0, vcc
	v_lshrrev_b32_e32 v64, 16, v52
	v_lshrrev_b32_e32 v67, 16, v53
	;; [unrolled: 1-line block ×5, first 2 shown]
	s_waitcnt vmcnt(0)
	v_mul_f16_sdwa v109, v65, v36 dst_sel:DWORD dst_unused:UNUSED_PAD src0_sel:DWORD src1_sel:WORD_1
	v_fma_f16 v109, v49, v36, -v109
	v_mul_f16_sdwa v49, v49, v36 dst_sel:DWORD dst_unused:UNUSED_PAD src0_sel:DWORD src1_sel:WORD_1
	v_fma_f16 v49, v65, v36, v49
	v_mul_f16_sdwa v65, v66, v37 dst_sel:DWORD dst_unused:UNUSED_PAD src0_sel:DWORD src1_sel:WORD_1
	v_fma_f16 v65, v39, v37, -v65
	v_mul_f16_sdwa v39, v39, v37 dst_sel:DWORD dst_unused:UNUSED_PAD src0_sel:DWORD src1_sel:WORD_1
	v_fma_f16 v66, v66, v37, v39
	global_load_dwordx2 v[38:39], v38, s[14:15] offset:1580
	s_waitcnt vmcnt(0)
	v_mul_f16_sdwa v110, v85, v38 dst_sel:DWORD dst_unused:UNUSED_PAD src0_sel:DWORD src1_sel:WORD_1
	v_fma_f16 v110, v41, v38, -v110
	v_mul_f16_sdwa v41, v41, v38 dst_sel:DWORD dst_unused:UNUSED_PAD src0_sel:DWORD src1_sel:WORD_1
	v_fma_f16 v85, v85, v38, v41
	v_mul_f16_sdwa v41, v99, v39 dst_sel:DWORD dst_unused:UNUSED_PAD src0_sel:DWORD src1_sel:WORD_1
	v_fma_f16 v111, v40, v39, -v41
	v_mul_f16_sdwa v40, v40, v39 dst_sel:DWORD dst_unused:UNUSED_PAD src0_sel:DWORD src1_sel:WORD_1
	v_fma_f16 v99, v99, v39, v40
	v_lshlrev_b32_e32 v40, 3, v46
	global_load_dwordx2 v[40:41], v40, s[14:15] offset:1580
	s_waitcnt vmcnt(0)
	v_mul_f16_sdwa v46, v101, v40 dst_sel:DWORD dst_unused:UNUSED_PAD src0_sel:DWORD src1_sel:WORD_1
	v_fma_f16 v46, v42, v40, -v46
	v_mul_f16_sdwa v42, v42, v40 dst_sel:DWORD dst_unused:UNUSED_PAD src0_sel:DWORD src1_sel:WORD_1
	v_fma_f16 v101, v101, v40, v42
	v_mul_f16_sdwa v42, v102, v41 dst_sel:DWORD dst_unused:UNUSED_PAD src0_sel:DWORD src1_sel:WORD_1
	v_fma_f16 v112, v43, v41, -v42
	v_mul_f16_sdwa v42, v43, v41 dst_sel:DWORD dst_unused:UNUSED_PAD src0_sel:DWORD src1_sel:WORD_1
	v_fma_f16 v102, v102, v41, v42
	v_lshlrev_b32_e32 v42, 3, v45
	global_load_dwordx2 v[42:43], v42, s[14:15] offset:1580
	s_waitcnt vmcnt(0)
	v_mul_f16_sdwa v45, v104, v42 dst_sel:DWORD dst_unused:UNUSED_PAD src0_sel:DWORD src1_sel:WORD_1
	v_fma_f16 v113, v34, v42, -v45
	v_mul_f16_sdwa v34, v34, v42 dst_sel:DWORD dst_unused:UNUSED_PAD src0_sel:DWORD src1_sel:WORD_1
	v_fma_f16 v104, v104, v42, v34
	v_mul_f16_sdwa v34, v105, v43 dst_sel:DWORD dst_unused:UNUSED_PAD src0_sel:DWORD src1_sel:WORD_1
	v_fma_f16 v114, v44, v43, -v34
	v_mul_f16_sdwa v34, v44, v43 dst_sel:DWORD dst_unused:UNUSED_PAD src0_sel:DWORD src1_sel:WORD_1
	v_fma_f16 v105, v105, v43, v34
	v_add_u32_e32 v34, 0x960, v61
	global_load_dwordx2 v[44:45], v34, s[14:15] offset:1580
	s_waitcnt vmcnt(0)
	v_mul_f16_sdwa v34, v107, v44 dst_sel:DWORD dst_unused:UNUSED_PAD src0_sel:DWORD src1_sel:WORD_1
	v_fma_f16 v61, v35, v44, -v34
	v_mul_f16_sdwa v34, v35, v44 dst_sel:DWORD dst_unused:UNUSED_PAD src0_sel:DWORD src1_sel:WORD_1
	v_fma_f16 v107, v107, v44, v34
	v_mul_f16_sdwa v34, v108, v45 dst_sel:DWORD dst_unused:UNUSED_PAD src0_sel:DWORD src1_sel:WORD_1
	v_fma_f16 v115, v60, v45, -v34
	v_mul_f16_sdwa v34, v60, v45 dst_sel:DWORD dst_unused:UNUSED_PAD src0_sel:DWORD src1_sel:WORD_1
	v_fma_f16 v60, v108, v45, v34
	v_add_co_u32_e32 v34, vcc, s12, v82
	v_addc_co_u32_e64 v35, s[16:17], 0, -1, vcc
	v_cndmask_b32_e64 v35, v35, v63, s[4:5]
	v_cndmask_b32_e64 v34, v34, v62, s[4:5]
	v_lshlrev_b64 v[34:35], 3, v[34:35]
	v_mov_b32_e32 v62, s15
	v_add_co_u32_e32 v34, vcc, s14, v34
	v_addc_co_u32_e32 v35, vcc, v62, v35, vcc
	global_load_dwordx2 v[34:35], v[34:35], off offset:1580
	v_add_f16_e32 v63, v109, v65
	s_movk_i32 s12, 0x3aee
	s_mov_b32 s14, 0xbaee
	s_waitcnt vmcnt(0)
	v_mul_f16_sdwa v62, v55, v34 dst_sel:DWORD dst_unused:UNUSED_PAD src0_sel:DWORD src1_sel:WORD_1
	v_fma_f16 v62, v54, v34, -v62
	v_mul_f16_sdwa v54, v54, v34 dst_sel:DWORD dst_unused:UNUSED_PAD src0_sel:DWORD src1_sel:WORD_1
	v_fma_f16 v54, v55, v34, v54
	v_mul_f16_sdwa v55, v57, v35 dst_sel:DWORD dst_unused:UNUSED_PAD src0_sel:DWORD src1_sel:WORD_1
	v_fma_f16 v55, v56, v35, -v55
	v_mul_f16_sdwa v56, v56, v35 dst_sel:DWORD dst_unused:UNUSED_PAD src0_sel:DWORD src1_sel:WORD_1
	v_fma_f16 v56, v57, v35, v56
	v_add_f16_e32 v57, v52, v109
	v_fma_f16 v52, v63, -0.5, v52
	v_sub_f16_e32 v63, v49, v66
	v_fma_f16 v108, v63, s12, v52
	v_fma_f16 v52, v63, s14, v52
	v_add_f16_e32 v63, v64, v49
	v_add_f16_e32 v49, v49, v66
	v_fma_f16 v49, v49, -0.5, v64
	v_sub_f16_e32 v64, v109, v65
	v_add_f16_e32 v57, v57, v65
	v_fma_f16 v65, v64, s14, v49
	v_fma_f16 v64, v64, s12, v49
	v_add_f16_e32 v49, v53, v110
	v_add_f16_e32 v63, v63, v66
	;; [unrolled: 1-line block ×4, first 2 shown]
	v_fma_f16 v49, v49, -0.5, v53
	v_sub_f16_e32 v53, v85, v99
	v_fma_f16 v109, v53, s12, v49
	v_fma_f16 v53, v53, s14, v49
	v_add_f16_e32 v49, v67, v85
	v_add_f16_e32 v116, v49, v99
	v_add_f16_e32 v49, v85, v99
	v_fma_f16 v49, v49, -0.5, v67
	v_sub_f16_e32 v67, v110, v111
	v_fma_f16 v110, v67, s14, v49
	v_fma_f16 v67, v67, s12, v49
	v_add_f16_e32 v49, v50, v46
	v_add_f16_e32 v111, v49, v112
	v_add_f16_e32 v49, v46, v112
	v_fma_f16 v49, v49, -0.5, v50
	v_sub_f16_e32 v50, v101, v102
	v_fma_f16 v117, v50, s12, v49
	v_fma_f16 v50, v50, s14, v49
	v_add_f16_e32 v49, v100, v101
	v_add_f16_e32 v118, v49, v102
	v_add_f16_e32 v49, v101, v102
	v_fma_f16 v49, v49, -0.5, v100
	v_sub_f16_e32 v46, v46, v112
	v_fma_f16 v102, v46, s14, v49
	v_fma_f16 v112, v46, s12, v49
	v_add_f16_e32 v46, v51, v113
	v_add_f16_e32 v119, v46, v114
	v_add_f16_e32 v46, v113, v114
	v_fma_f16 v46, v46, -0.5, v51
	v_sub_f16_e32 v49, v104, v105
	v_fma_f16 v51, v49, s12, v46
	v_fma_f16 v120, v49, s14, v46
	v_add_f16_e32 v46, v103, v104
	v_add_f16_e32 v121, v46, v105
	v_add_f16_e32 v46, v104, v105
	v_fma_f16 v46, v46, -0.5, v103
	v_sub_f16_e32 v49, v113, v114
	v_fma_f16 v103, v49, s14, v46
	v_fma_f16 v104, v49, s12, v46
	v_add_f16_e32 v46, v48, v61
	v_add_f16_e32 v105, v46, v115
	v_add_f16_e32 v46, v61, v115
	v_fma_f16 v46, v46, -0.5, v48
	v_sub_f16_e32 v48, v107, v60
	v_fma_f16 v113, v48, s12, v46
	v_fma_f16 v114, v48, s14, v46
	v_add_f16_e32 v46, v106, v107
	v_add_f16_e32 v122, v46, v60
	v_add_f16_e32 v46, v107, v60
	v_fma_f16 v46, v46, -0.5, v106
	v_sub_f16_e32 v48, v61, v115
	v_fma_f16 v60, v48, s14, v46
	v_fma_f16 v61, v48, s12, v46
	v_add_f16_e32 v46, v58, v62
	v_add_f16_e32 v48, v46, v55
	v_add_f16_e32 v46, v62, v55
	v_fma_f16 v46, v46, -0.5, v58
	v_sub_f16_e32 v58, v54, v56
	v_fma_f16 v49, v58, s12, v46
	v_fma_f16 v46, v58, s14, v46
	v_add_f16_e32 v58, v59, v54
	v_add_f16_e32 v54, v54, v56
	v_fma_f16 v54, v54, -0.5, v59
	v_sub_f16_e32 v55, v62, v55
	v_lshl_add_u32 v85, v82, 2, v86
	v_pack_b32_f16 v52, v52, v64
	v_fma_f16 v100, v55, s14, v54
	v_fma_f16 v101, v55, s12, v54
	v_pack_b32_f16 v54, v57, v63
	v_pack_b32_f16 v55, v108, v65
	ds_write_b32 v85, v52 offset:3200
	v_pack_b32_f16 v52, v66, v116
	ds_write_b32 v85, v55 offset:1600
	ds_write2_b32 v68, v54, v52 offset1:75
	v_pack_b32_f16 v52, v109, v110
	ds_write_b32 v85, v52 offset:1900
	v_pack_b32_f16 v52, v53, v67
	ds_write_b32 v85, v52 offset:3500
	v_pack_b32_f16 v52, v111, v118
	v_pack_b32_f16 v50, v50, v112
	ds_write_b32 v68, v52 offset:600
	v_pack_b32_f16 v52, v117, v102
	ds_write_b32 v68, v50 offset:3800
	;; [unrolled: 2-line block ×3, first 2 shown]
	ds_write_b32 v85, v50 offset:900
	v_pack_b32_f16 v50, v51, v103
	ds_write_b32 v68, v50 offset:2500
	v_pack_b32_f16 v50, v120, v104
	;; [unrolled: 2-line block ×4, first 2 shown]
	v_add_f16_e32 v99, v58, v56
	ds_write_b32 v68, v50 offset:2800
	v_pack_b32_f16 v50, v114, v61
	ds_write_b32 v68, v50 offset:4400
	s_and_saveexec_b64 s[14:15], s[4:5]
	s_cbranch_execz .LBB0_15
; %bb.14:
	s_mov_b32 s12, 0x5040100
	v_perm_b32 v50, v99, v48, s12
	ds_write_b32 v85, v50 offset:1500
	v_perm_b32 v50, v100, v49, s12
	ds_write_b32 v85, v50 offset:3100
	v_perm_b32 v50, v101, v46, s12
	ds_write_b32 v85, v50 offset:4700
.LBB0_15:
	s_or_b64 exec, exec, s[14:15]
	v_mov_b32_e32 v50, s13
	v_addc_co_u32_e64 v67, vcc, 0, v50, s[2:3]
	v_add_co_u32_e32 v50, vcc, 0x12c0, v31
	v_addc_co_u32_e32 v51, vcc, 0, v67, vcc
	v_add_co_u32_e32 v55, vcc, 0x1000, v31
	v_addc_co_u32_e32 v56, vcc, 0, v67, vcc
	s_waitcnt lgkmcnt(0)
	s_barrier
	global_load_dword v55, v[55:56], off offset:704
	ds_read2_b32 v[53:54], v68 offset1:75
	s_movk_i32 s2, 0x2000
	global_load_dword v58, v[50:51], off offset:1920
	global_load_dword v64, v[50:51], off offset:3840
	s_waitcnt lgkmcnt(0)
	v_lshrrev_b32_e32 v52, 16, v53
	s_waitcnt vmcnt(2)
	v_mul_f16_sdwa v56, v52, v55 dst_sel:DWORD dst_unused:UNUSED_PAD src0_sel:DWORD src1_sel:WORD_1
	v_fma_f16 v56, v53, v55, -v56
	v_mul_f16_sdwa v53, v53, v55 dst_sel:DWORD dst_unused:UNUSED_PAD src0_sel:DWORD src1_sel:WORD_1
	v_fma_f16 v52, v52, v55, v53
	global_load_dword v53, v[50:51], off offset:960
	v_pack_b32_f16 v59, v56, v52
	ds_read2_b32 v[55:56], v68 offset0:150 offset1:240
	s_waitcnt lgkmcnt(0)
	v_lshrrev_b32_e32 v52, 16, v56
	s_waitcnt vmcnt(0)
	v_mul_f16_sdwa v57, v52, v53 dst_sel:DWORD dst_unused:UNUSED_PAD src0_sel:DWORD src1_sel:WORD_1
	v_fma_f16 v57, v56, v53, -v57
	v_mul_f16_sdwa v56, v56, v53 dst_sel:DWORD dst_unused:UNUSED_PAD src0_sel:DWORD src1_sel:WORD_1
	v_fma_f16 v52, v52, v53, v56
	v_pack_b32_f16 v102, v57, v52
	v_add_u32_e32 v52, 0x600, v68
	ds_read2_b32 v[56:57], v52 offset0:96 offset1:171
	s_waitcnt lgkmcnt(0)
	v_lshrrev_b32_e32 v53, 16, v56
	v_mul_f16_sdwa v60, v53, v58 dst_sel:DWORD dst_unused:UNUSED_PAD src0_sel:DWORD src1_sel:WORD_1
	v_fma_f16 v60, v56, v58, -v60
	v_mul_f16_sdwa v56, v56, v58 dst_sel:DWORD dst_unused:UNUSED_PAD src0_sel:DWORD src1_sel:WORD_1
	v_fma_f16 v53, v53, v58, v56
	v_pack_b32_f16 v56, v60, v53
	global_load_dword v60, v[50:51], off offset:2880
	v_add_u32_e32 v53, 0x800, v68
	ds_read2_b32 v[61:62], v53 offset0:118 offset1:208
	s_waitcnt lgkmcnt(0)
	v_lshrrev_b32_e32 v58, 16, v62
	s_waitcnt vmcnt(0)
	v_mul_f16_sdwa v63, v58, v60 dst_sel:DWORD dst_unused:UNUSED_PAD src0_sel:DWORD src1_sel:WORD_1
	v_fma_f16 v63, v62, v60, -v63
	v_mul_f16_sdwa v62, v62, v60 dst_sel:DWORD dst_unused:UNUSED_PAD src0_sel:DWORD src1_sel:WORD_1
	v_fma_f16 v58, v58, v60, v62
	v_pack_b32_f16 v103, v63, v58
	v_add_u32_e32 v58, 0xe00, v68
	ds_read2_b32 v[62:63], v58 offset0:64 offset1:139
	s_waitcnt lgkmcnt(0)
	v_lshrrev_b32_e32 v60, 16, v62
	v_mul_f16_sdwa v65, v60, v64 dst_sel:DWORD dst_unused:UNUSED_PAD src0_sel:DWORD src1_sel:WORD_1
	v_fma_f16 v65, v62, v64, -v65
	v_mul_f16_sdwa v62, v62, v64 dst_sel:DWORD dst_unused:UNUSED_PAD src0_sel:DWORD src1_sel:WORD_1
	v_fma_f16 v60, v60, v64, v62
	global_load_dword v64, v[50:51], off offset:300
	v_pack_b32_f16 v62, v65, v60
	v_lshrrev_b32_e32 v60, 16, v54
	s_waitcnt vmcnt(0)
	v_mul_f16_sdwa v65, v60, v64 dst_sel:DWORD dst_unused:UNUSED_PAD src0_sel:DWORD src1_sel:WORD_1
	v_fma_f16 v65, v54, v64, -v65
	v_mul_f16_sdwa v54, v54, v64 dst_sel:DWORD dst_unused:UNUSED_PAD src0_sel:DWORD src1_sel:WORD_1
	v_fma_f16 v54, v60, v64, v54
	global_load_dword v60, v[50:51], off offset:1260
	v_pack_b32_f16 v54, v65, v54
	ds_write2_b32 v68, v59, v54 offset1:75
	v_add_u32_e32 v59, 0x400, v68
	ds_read2_b32 v[64:65], v59 offset0:59 offset1:134
	s_waitcnt lgkmcnt(0)
	v_lshrrev_b32_e32 v54, 16, v64
	s_waitcnt vmcnt(0)
	v_mul_f16_sdwa v66, v54, v60 dst_sel:DWORD dst_unused:UNUSED_PAD src0_sel:DWORD src1_sel:WORD_1
	v_fma_f16 v66, v64, v60, -v66
	v_mul_f16_sdwa v64, v64, v60 dst_sel:DWORD dst_unused:UNUSED_PAD src0_sel:DWORD src1_sel:WORD_1
	v_fma_f16 v54, v54, v60, v64
	global_load_dword v64, v[50:51], off offset:2220
	v_lshrrev_b32_e32 v60, 16, v57
	v_pack_b32_f16 v54, v66, v54
	s_waitcnt vmcnt(0)
	v_mul_f16_sdwa v66, v60, v64 dst_sel:DWORD dst_unused:UNUSED_PAD src0_sel:DWORD src1_sel:WORD_1
	v_fma_f16 v66, v57, v64, -v66
	v_mul_f16_sdwa v57, v57, v64 dst_sel:DWORD dst_unused:UNUSED_PAD src0_sel:DWORD src1_sel:WORD_1
	v_fma_f16 v57, v60, v64, v57
	v_pack_b32_f16 v57, v66, v57
	global_load_dword v66, v[50:51], off offset:3180
	v_add_u32_e32 v60, 0xc00, v68
	ds_write2_b32 v52, v56, v57 offset0:96 offset1:171
	ds_read2_b32 v[56:57], v60 offset0:27 offset1:102
	s_waitcnt lgkmcnt(0)
	v_lshrrev_b32_e32 v64, 16, v56
	s_waitcnt vmcnt(0)
	v_mul_f16_sdwa v104, v64, v66 dst_sel:DWORD dst_unused:UNUSED_PAD src0_sel:DWORD src1_sel:WORD_1
	v_fma_f16 v104, v56, v66, -v104
	v_mul_f16_sdwa v56, v56, v66 dst_sel:DWORD dst_unused:UNUSED_PAD src0_sel:DWORD src1_sel:WORD_1
	v_fma_f16 v56, v64, v66, v56
	v_add_co_u32_e32 v66, vcc, s2, v31
	v_addc_co_u32_e32 v67, vcc, 0, v67, vcc
	v_pack_b32_f16 v56, v104, v56
	global_load_dword v104, v[66:67], off offset:748
	v_lshrrev_b32_e32 v64, 16, v63
	s_waitcnt vmcnt(0)
	v_mul_f16_sdwa v105, v64, v104 dst_sel:DWORD dst_unused:UNUSED_PAD src0_sel:DWORD src1_sel:WORD_1
	v_fma_f16 v105, v63, v104, -v105
	v_mul_f16_sdwa v63, v63, v104 dst_sel:DWORD dst_unused:UNUSED_PAD src0_sel:DWORD src1_sel:WORD_1
	v_fma_f16 v63, v64, v104, v63
	v_pack_b32_f16 v63, v105, v63
	ds_write2_b32 v58, v62, v63 offset0:64 offset1:139
	global_load_dword v63, v[50:51], off offset:600
	v_lshrrev_b32_e32 v62, 16, v55
	s_waitcnt vmcnt(0)
	v_mul_f16_sdwa v64, v62, v63 dst_sel:DWORD dst_unused:UNUSED_PAD src0_sel:DWORD src1_sel:WORD_1
	v_fma_f16 v64, v55, v63, -v64
	v_mul_f16_sdwa v55, v55, v63 dst_sel:DWORD dst_unused:UNUSED_PAD src0_sel:DWORD src1_sel:WORD_1
	v_fma_f16 v55, v62, v63, v55
	global_load_dword v62, v[50:51], off offset:1560
	v_pack_b32_f16 v55, v64, v55
	ds_write2_b32 v68, v55, v102 offset0:150 offset1:240
	v_lshrrev_b32_e32 v55, 16, v65
	s_waitcnt vmcnt(0)
	v_mul_f16_sdwa v63, v55, v62 dst_sel:DWORD dst_unused:UNUSED_PAD src0_sel:DWORD src1_sel:WORD_1
	v_mul_f16_sdwa v64, v65, v62 dst_sel:DWORD dst_unused:UNUSED_PAD src0_sel:DWORD src1_sel:WORD_1
	v_fma_f16 v63, v65, v62, -v63
	v_fma_f16 v55, v55, v62, v64
	v_pack_b32_f16 v55, v63, v55
	ds_write2_b32 v59, v54, v55 offset0:59 offset1:134
	global_load_dword v55, v[50:51], off offset:2520
	v_lshrrev_b32_e32 v54, 16, v61
	s_waitcnt vmcnt(0)
	v_mul_f16_sdwa v62, v54, v55 dst_sel:DWORD dst_unused:UNUSED_PAD src0_sel:DWORD src1_sel:WORD_1
	v_fma_f16 v62, v61, v55, -v62
	v_mul_f16_sdwa v61, v61, v55 dst_sel:DWORD dst_unused:UNUSED_PAD src0_sel:DWORD src1_sel:WORD_1
	v_fma_f16 v54, v54, v55, v61
	global_load_dword v55, v[50:51], off offset:3480
	v_pack_b32_f16 v54, v62, v54
	ds_write2_b32 v53, v54, v103 offset0:118 offset1:208
	v_lshrrev_b32_e32 v54, 16, v57
	s_waitcnt vmcnt(0)
	v_mul_f16_sdwa v61, v54, v55 dst_sel:DWORD dst_unused:UNUSED_PAD src0_sel:DWORD src1_sel:WORD_1
	v_fma_f16 v61, v57, v55, -v61
	v_mul_f16_sdwa v57, v57, v55 dst_sel:DWORD dst_unused:UNUSED_PAD src0_sel:DWORD src1_sel:WORD_1
	v_fma_f16 v54, v54, v55, v57
	v_pack_b32_f16 v54, v61, v54
	ds_write2_b32 v60, v56, v54 offset0:27 offset1:102
	global_load_dword v56, v[66:67], off offset:1048
	ds_read_b32 v54, v68 offset:4440
	s_waitcnt lgkmcnt(0)
	v_lshrrev_b32_e32 v55, 16, v54
	s_waitcnt vmcnt(0)
	v_mul_f16_sdwa v57, v55, v56 dst_sel:DWORD dst_unused:UNUSED_PAD src0_sel:DWORD src1_sel:WORD_1
	v_fma_f16 v57, v54, v56, -v57
	v_mul_f16_sdwa v54, v54, v56 dst_sel:DWORD dst_unused:UNUSED_PAD src0_sel:DWORD src1_sel:WORD_1
	v_fma_f16 v54, v55, v56, v54
	v_pack_b32_f16 v54, v57, v54
	ds_write_b32 v68, v54 offset:4440
	s_and_saveexec_b64 s[2:3], s[0:1]
	s_cbranch_execz .LBB0_17
; %bb.16:
	global_load_dword v54, v[50:51], off offset:900
	global_load_dword v56, v[50:51], off offset:1860
	;; [unrolled: 1-line block ×4, first 2 shown]
	v_add_co_u32_e32 v50, vcc, 0x1000, v50
	v_addc_co_u32_e32 v51, vcc, 0, v51, vcc
	global_load_dword v62, v[50:51], off offset:644
	ds_read_b32 v50, v85 offset:900
	v_add_u32_e32 v63, 0x740, v68
	s_waitcnt lgkmcnt(0)
	v_lshrrev_b32_e32 v51, 16, v50
	s_waitcnt vmcnt(4)
	v_mul_f16_sdwa v55, v51, v54 dst_sel:DWORD dst_unused:UNUSED_PAD src0_sel:DWORD src1_sel:WORD_1
	v_mul_f16_sdwa v64, v50, v54 dst_sel:DWORD dst_unused:UNUSED_PAD src0_sel:DWORD src1_sel:WORD_1
	v_fma_f16 v50, v50, v54, -v55
	v_fma_f16 v51, v51, v54, v64
	v_pack_b32_f16 v50, v50, v51
	ds_write_b32 v85, v50 offset:900
	ds_read2_b32 v[50:51], v63 offset0:1 offset1:241
	v_add_u32_e32 v64, 0xec0, v68
	ds_read2_b32 v[54:55], v64 offset0:1 offset1:241
	s_waitcnt lgkmcnt(1)
	v_lshrrev_b32_e32 v65, 16, v50
	s_waitcnt vmcnt(3)
	v_mul_f16_sdwa v66, v50, v56 dst_sel:DWORD dst_unused:UNUSED_PAD src0_sel:DWORD src1_sel:WORD_1
	v_lshrrev_b32_e32 v67, 16, v51
	s_waitcnt vmcnt(2)
	v_mul_f16_sdwa v102, v51, v57 dst_sel:DWORD dst_unused:UNUSED_PAD src0_sel:DWORD src1_sel:WORD_1
	s_waitcnt lgkmcnt(0)
	v_lshrrev_b32_e32 v103, 16, v54
	s_waitcnt vmcnt(1)
	v_mul_f16_sdwa v104, v54, v61 dst_sel:DWORD dst_unused:UNUSED_PAD src0_sel:DWORD src1_sel:WORD_1
	v_lshrrev_b32_e32 v105, 16, v55
	v_mul_f16_sdwa v107, v65, v56 dst_sel:DWORD dst_unused:UNUSED_PAD src0_sel:DWORD src1_sel:WORD_1
	v_fma_f16 v65, v65, v56, v66
	v_mul_f16_sdwa v66, v67, v57 dst_sel:DWORD dst_unused:UNUSED_PAD src0_sel:DWORD src1_sel:WORD_1
	s_waitcnt vmcnt(0)
	v_mul_f16_sdwa v106, v55, v62 dst_sel:DWORD dst_unused:UNUSED_PAD src0_sel:DWORD src1_sel:WORD_1
	v_fma_f16 v67, v67, v57, v102
	v_mul_f16_sdwa v102, v103, v61 dst_sel:DWORD dst_unused:UNUSED_PAD src0_sel:DWORD src1_sel:WORD_1
	v_fma_f16 v103, v103, v61, v104
	v_mul_f16_sdwa v104, v105, v62 dst_sel:DWORD dst_unused:UNUSED_PAD src0_sel:DWORD src1_sel:WORD_1
	v_fma_f16 v50, v50, v56, -v107
	v_fma_f16 v51, v51, v57, -v66
	v_fma_f16 v105, v105, v62, v106
	v_fma_f16 v54, v54, v61, -v102
	v_fma_f16 v55, v55, v62, -v104
	v_pack_b32_f16 v50, v50, v65
	v_pack_b32_f16 v51, v51, v67
	;; [unrolled: 1-line block ×4, first 2 shown]
	ds_write2_b32 v63, v50, v51 offset0:1 offset1:241
	ds_write2_b32 v64, v54, v55 offset0:1 offset1:241
.LBB0_17:
	s_or_b64 exec, exec, s[2:3]
	s_waitcnt lgkmcnt(0)
	s_barrier
	ds_read2_b32 v[62:63], v68 offset1:75
	ds_read2_b32 v[54:55], v68 offset0:150 offset1:240
	ds_read2_b32 v[64:65], v52 offset0:96 offset1:171
	;; [unrolled: 1-line block ×6, first 2 shown]
	ds_read_b32 v105, v68 offset:4440
	s_and_saveexec_b64 s[2:3], s[0:1]
	s_cbranch_execz .LBB0_19
; %bb.18:
	v_add_u32_e32 v46, 0x380, v85
	ds_read2_b32 v[48:49], v46 offset0:1 offset1:241
	v_add_u32_e32 v46, 0xb00, v85
	ds_read2_b32 v[46:47], v46 offset0:1 offset1:241
	ds_read_b32 v96, v85 offset:4740
	s_waitcnt lgkmcnt(2)
	v_lshrrev_b32_e32 v99, 16, v48
	v_lshrrev_b32_e32 v100, 16, v49
	s_waitcnt lgkmcnt(1)
	v_lshrrev_b32_e32 v101, 16, v46
	v_lshrrev_b32_e32 v98, 16, v47
	s_waitcnt lgkmcnt(0)
	v_lshrrev_b32_e32 v97, 16, v96
.LBB0_19:
	s_or_b64 exec, exec, s[2:3]
	v_add_f16_e32 v51, v46, v47
	v_fma_f16 v52, v51, -0.5, v48
	v_sub_f16_e32 v53, v100, v97
	s_mov_b32 s2, 0xbb9c
	s_movk_i32 s13, 0x3b9c
	v_fma_f16 v51, v53, s2, v52
	v_sub_f16_e32 v102, v101, v98
	s_mov_b32 s3, 0xb8b4
	v_sub_f16_e32 v103, v49, v46
	v_sub_f16_e32 v104, v96, v47
	v_fma_f16 v52, v53, s13, v52
	s_movk_i32 s14, 0x38b4
	v_fma_f16 v51, v102, s3, v51
	v_add_f16_e32 v103, v103, v104
	s_movk_i32 s12, 0x34f2
	v_fma_f16 v52, v102, s14, v52
	v_fma_f16 v51, v103, s12, v51
	;; [unrolled: 1-line block ×3, first 2 shown]
	v_add_f16_e32 v52, v49, v96
	v_add_f16_e32 v50, v49, v48
	v_fma_f16 v48, v52, -0.5, v48
	v_fma_f16 v52, v102, s13, v48
	v_sub_f16_e32 v104, v46, v49
	v_sub_f16_e32 v109, v47, v96
	v_fma_f16 v48, v102, s2, v48
	v_add_f16_e32 v104, v104, v109
	v_fma_f16 v48, v53, s14, v48
	v_fma_f16 v52, v53, s3, v52
	;; [unrolled: 1-line block ×3, first 2 shown]
	v_add_f16_e32 v48, v100, v99
	v_add_f16_e32 v48, v101, v48
	v_add_f16_e32 v48, v98, v48
	v_add_f16_e32 v50, v46, v50
	v_add_f16_e32 v102, v97, v48
	v_add_f16_e32 v48, v101, v98
	v_add_f16_e32 v50, v47, v50
	v_fma_f16 v48, v48, -0.5, v99
	v_sub_f16_e32 v49, v49, v96
	v_add_f16_e32 v50, v96, v50
	v_fma_f16 v96, v49, s13, v48
	v_sub_f16_e32 v46, v46, v47
	v_fma_f16 v52, v104, s12, v52
	v_fma_f16 v47, v46, s14, v96
	v_sub_f16_e32 v96, v100, v101
	v_sub_f16_e32 v104, v97, v98
	v_add_f16_e32 v96, v96, v104
	v_fma_f16 v104, v96, s12, v47
	v_fma_f16 v47, v49, s2, v48
	v_fma_f16 v47, v46, s3, v47
	v_fma_f16 v96, v96, s12, v47
	v_add_f16_e32 v47, v100, v97
	v_fma_f16 v47, v47, -0.5, v99
	v_fma_f16 v48, v46, s2, v47
	v_sub_f16_e32 v99, v101, v100
	v_sub_f16_e32 v97, v98, v97
	v_fma_f16 v48, v49, s14, v48
	v_add_f16_e32 v98, v99, v97
	v_fma_f16 v46, v46, s13, v47
	s_waitcnt lgkmcnt(6)
	v_pk_add_f16 v106, v62, v55
	v_fma_f16 v97, v98, s12, v48
	v_fma_f16 v46, v49, s3, v46
	s_waitcnt lgkmcnt(4)
	v_pk_add_f16 v47, v64, v57
	s_waitcnt lgkmcnt(3)
	v_pk_add_f16 v48, v55, v66 neg_lo:[0,1] neg_hi:[0,1]
	v_fma_f16 v98, v98, s12, v46
	v_pk_add_f16 v46, v106, v64
	v_pk_fma_f16 v47, v47, 0.5, v62 op_sel_hi:[1,0,1] neg_lo:[1,0,0] neg_hi:[1,0,0]
	v_pk_mul_f16 v49, v48, s13 op_sel_hi:[1,0]
	v_pk_add_f16 v99, v64, v57 neg_lo:[0,1] neg_hi:[0,1]
	v_pk_add_f16 v101, v55, v64 neg_lo:[0,1] neg_hi:[0,1]
	;; [unrolled: 1-line block ×3, first 2 shown]
	v_pk_mul_f16 v100, v99, s14 op_sel_hi:[1,0]
	v_pk_add_f16 v101, v101, v106
	v_pk_add_f16 v106, v47, v49 op_sel:[0,1] op_sel_hi:[1,0] neg_lo:[0,1] neg_hi:[0,1]
	v_pk_add_f16 v47, v47, v49 op_sel:[0,1] op_sel_hi:[1,0]
	v_pk_add_f16 v49, v106, v100 op_sel:[0,1] op_sel_hi:[1,0] neg_lo:[0,1] neg_hi:[0,1]
	s_mov_b32 s2, 0xffff
	v_pk_add_f16 v47, v47, v100 op_sel:[0,1] op_sel_hi:[1,0]
	v_pk_add_f16 v46, v46, v57
	v_bfi_b32 v100, s2, v49, v47
	v_pk_add_f16 v46, v46, v66
	v_pk_fma_f16 v100, v101, s12, v100 op_sel_hi:[1,0,1]
	s_waitcnt lgkmcnt(0)
	s_barrier
	ds_write2_b32 v87, v46, v100 offset1:1
	v_pk_add_f16 v46, v55, v66
	v_pk_add_f16 v55, v64, v55 neg_lo:[0,1] neg_hi:[0,1]
	v_pk_add_f16 v57, v57, v66 neg_lo:[0,1] neg_hi:[0,1]
	v_pk_fma_f16 v46, v46, 0.5, v62 op_sel_hi:[1,0,1] neg_lo:[1,0,0] neg_hi:[1,0,0]
	v_pk_add_f16 v55, v55, v57
	v_pk_mul_f16 v57, v99, s13 op_sel_hi:[1,0]
	v_pk_mul_f16 v48, v48, s14 op_sel_hi:[1,0]
	v_pk_add_f16 v62, v46, v57 op_sel:[0,1] op_sel_hi:[1,0]
	v_pk_add_f16 v46, v46, v57 op_sel:[0,1] op_sel_hi:[1,0] neg_lo:[0,1] neg_hi:[0,1]
	v_pk_add_f16 v57, v62, v48 op_sel:[0,1] op_sel_hi:[1,0] neg_lo:[0,1] neg_hi:[0,1]
	v_pk_add_f16 v46, v46, v48 op_sel:[0,1] op_sel_hi:[1,0]
	v_bfi_b32 v48, s2, v57, v46
	v_bfi_b32 v46, s2, v46, v57
	v_pk_fma_f16 v48, v55, s12, v48 op_sel_hi:[1,0,1]
	v_pk_fma_f16 v46, v55, s12, v46 op_sel_hi:[1,0,1]
	ds_write2_b32 v87, v48, v46 offset0:2 offset1:3
	v_bfi_b32 v46, s2, v47, v49
	v_pk_add_f16 v47, v65, v60
	v_pk_add_f16 v48, v58, v67 neg_lo:[0,1] neg_hi:[0,1]
	v_pk_fma_f16 v47, v47, 0.5, v63 op_sel_hi:[1,0,1] neg_lo:[1,0,0] neg_hi:[1,0,0]
	v_pk_mul_f16 v49, v48, s13 op_sel_hi:[1,0]
	v_pk_add_f16 v55, v65, v60 neg_lo:[0,1] neg_hi:[0,1]
	v_pk_add_f16 v62, v58, v65 neg_lo:[0,1] neg_hi:[0,1]
	;; [unrolled: 1-line block ×3, first 2 shown]
	v_pk_add_f16 v107, v63, v58
	v_pk_fma_f16 v46, v101, s12, v46 op_sel_hi:[1,0,1]
	v_pk_mul_f16 v57, v55, s14 op_sel_hi:[1,0]
	v_pk_add_f16 v62, v62, v64
	v_pk_add_f16 v64, v47, v49 op_sel:[0,1] op_sel_hi:[1,0] neg_lo:[0,1] neg_hi:[0,1]
	v_pk_add_f16 v47, v47, v49 op_sel:[0,1] op_sel_hi:[1,0]
	ds_write_b32 v87, v46 offset:16
	v_pk_add_f16 v46, v107, v65
	v_pk_add_f16 v49, v64, v57 op_sel:[0,1] op_sel_hi:[1,0] neg_lo:[0,1] neg_hi:[0,1]
	v_pk_add_f16 v47, v47, v57 op_sel:[0,1] op_sel_hi:[1,0]
	v_pk_add_f16 v46, v46, v60
	v_bfi_b32 v57, s2, v49, v47
	v_pk_add_f16 v46, v46, v67
	v_pk_fma_f16 v57, v62, s12, v57 op_sel_hi:[1,0,1]
	ds_write2_b32 v88, v46, v57 offset1:1
	v_pk_add_f16 v46, v58, v67
	v_pk_fma_f16 v46, v46, 0.5, v63 op_sel_hi:[1,0,1] neg_lo:[1,0,0] neg_hi:[1,0,0]
	v_pk_add_f16 v57, v65, v58 neg_lo:[0,1] neg_hi:[0,1]
	v_pk_add_f16 v58, v60, v67 neg_lo:[0,1] neg_hi:[0,1]
	v_pk_mul_f16 v55, v55, s13 op_sel_hi:[1,0]
	v_pk_add_f16 v57, v57, v58
	v_pk_mul_f16 v48, v48, s14 op_sel_hi:[1,0]
	v_pk_add_f16 v58, v46, v55 op_sel:[0,1] op_sel_hi:[1,0]
	v_pk_add_f16 v46, v46, v55 op_sel:[0,1] op_sel_hi:[1,0] neg_lo:[0,1] neg_hi:[0,1]
	v_pk_add_f16 v55, v58, v48 op_sel:[0,1] op_sel_hi:[1,0] neg_lo:[0,1] neg_hi:[0,1]
	v_pk_add_f16 v46, v46, v48 op_sel:[0,1] op_sel_hi:[1,0]
	v_bfi_b32 v48, s2, v55, v46
	v_bfi_b32 v46, s2, v46, v55
	v_pk_fma_f16 v48, v57, s12, v48 op_sel_hi:[1,0,1]
	v_pk_fma_f16 v46, v57, s12, v46 op_sel_hi:[1,0,1]
	ds_write2_b32 v88, v48, v46 offset0:2 offset1:3
	v_bfi_b32 v46, s2, v47, v49
	v_pk_add_f16 v47, v56, v61
	v_pk_add_f16 v48, v59, v105 neg_lo:[0,1] neg_hi:[0,1]
	v_pk_fma_f16 v47, v47, 0.5, v54 op_sel_hi:[1,0,1] neg_lo:[1,0,0] neg_hi:[1,0,0]
	v_pk_mul_f16 v49, v48, s13 op_sel_hi:[1,0]
	v_pk_add_f16 v55, v56, v61 neg_lo:[0,1] neg_hi:[0,1]
	v_pk_add_f16 v58, v59, v56 neg_lo:[0,1] neg_hi:[0,1]
	;; [unrolled: 1-line block ×3, first 2 shown]
	v_pk_add_f16 v108, v54, v59
	v_pk_fma_f16 v46, v62, s12, v46 op_sel_hi:[1,0,1]
	v_pk_mul_f16 v57, v55, s14 op_sel_hi:[1,0]
	v_pk_add_f16 v58, v58, v60
	v_pk_add_f16 v60, v47, v49 op_sel:[0,1] op_sel_hi:[1,0] neg_lo:[0,1] neg_hi:[0,1]
	v_pk_add_f16 v47, v47, v49 op_sel:[0,1] op_sel_hi:[1,0]
	ds_write_b32 v88, v46 offset:16
	v_pk_add_f16 v46, v108, v56
	v_pk_add_f16 v49, v60, v57 op_sel:[0,1] op_sel_hi:[1,0] neg_lo:[0,1] neg_hi:[0,1]
	v_pk_add_f16 v47, v47, v57 op_sel:[0,1] op_sel_hi:[1,0]
	v_pk_add_f16 v46, v46, v61
	v_bfi_b32 v57, s2, v49, v47
	v_pk_add_f16 v46, v46, v105
	v_pk_fma_f16 v57, v58, s12, v57 op_sel_hi:[1,0,1]
	ds_write2_b32 v89, v46, v57 offset1:1
	v_pk_add_f16 v46, v59, v105
	v_pk_fma_f16 v46, v46, 0.5, v54 op_sel_hi:[1,0,1] neg_lo:[1,0,0] neg_hi:[1,0,0]
	v_pk_add_f16 v54, v56, v59 neg_lo:[0,1] neg_hi:[0,1]
	v_pk_add_f16 v56, v61, v105 neg_lo:[0,1] neg_hi:[0,1]
	v_pk_mul_f16 v55, v55, s13 op_sel_hi:[1,0]
	v_pk_add_f16 v54, v54, v56
	v_pk_mul_f16 v48, v48, s14 op_sel_hi:[1,0]
	v_pk_add_f16 v56, v46, v55 op_sel:[0,1] op_sel_hi:[1,0]
	v_pk_add_f16 v46, v46, v55 op_sel:[0,1] op_sel_hi:[1,0] neg_lo:[0,1] neg_hi:[0,1]
	v_pk_add_f16 v55, v56, v48 op_sel:[0,1] op_sel_hi:[1,0] neg_lo:[0,1] neg_hi:[0,1]
	v_pk_add_f16 v46, v46, v48 op_sel:[0,1] op_sel_hi:[1,0]
	v_bfi_b32 v48, s2, v55, v46
	v_bfi_b32 v46, s2, v46, v55
	v_pk_fma_f16 v48, v54, s12, v48 op_sel_hi:[1,0,1]
	v_pk_fma_f16 v46, v54, s12, v46 op_sel_hi:[1,0,1]
	ds_write2_b32 v89, v48, v46 offset0:2 offset1:3
	v_bfi_b32 v46, s2, v47, v49
	v_pk_fma_f16 v46, v58, s12, v46 op_sel_hi:[1,0,1]
	ds_write_b32 v89, v46 offset:16
	s_and_saveexec_b64 s[2:3], s[0:1]
	s_cbranch_execz .LBB0_21
; %bb.20:
	s_mov_b32 s12, 0x5040100
	v_lshl_add_u32 v46, v90, 2, v86
	v_perm_b32 v47, v104, v51, s12
	v_perm_b32 v48, v102, v50, s12
	ds_write2_b32 v46, v48, v47 offset1:1
	v_perm_b32 v47, v98, v53, s12
	v_perm_b32 v48, v97, v52, s12
	ds_write2_b32 v46, v48, v47 offset0:2 offset1:3
	v_perm_b32 v47, v96, v103, s12
	ds_write_b32 v46, v47 offset:16
.LBB0_21:
	s_or_b64 exec, exec, s[2:3]
	v_add_u32_e32 v56, 0xe00, v68
	s_waitcnt lgkmcnt(0)
	s_barrier
	ds_read2_b32 v[48:49], v68 offset1:75
	ds_read2_b32 v[46:47], v68 offset0:150 offset1:240
	v_add_u32_e32 v54, 0x600, v68
	ds_read2_b32 v[62:63], v56 offset0:64 offset1:139
	v_add_u32_e32 v56, 0x400, v68
	;; [unrolled: 2-line block ×4, first 2 shown]
	ds_read2_b32 v[54:55], v54 offset0:118 offset1:208
	ds_read2_b32 v[56:57], v56 offset0:27 offset1:102
	ds_read_b32 v64, v68 offset:4440
	s_and_saveexec_b64 s[2:3], s[0:1]
	s_cbranch_execz .LBB0_23
; %bb.22:
	v_add_u32_e32 v50, 0x380, v68
	v_add_u32_e32 v52, 0xb00, v68
	ds_read2_b32 v[50:51], v50 offset0:1 offset1:241
	ds_read2_b32 v[52:53], v52 offset0:1 offset1:241
	ds_read_b32 v103, v68 offset:4740
	s_waitcnt lgkmcnt(1)
	v_lshrrev_b32_e32 v97, 16, v52
	v_lshrrev_b32_e32 v102, 16, v50
	;; [unrolled: 1-line block ×4, first 2 shown]
	s_waitcnt lgkmcnt(0)
	v_lshrrev_b32_e32 v96, 16, v103
.LBB0_23:
	s_or_b64 exec, exec, s[2:3]
	s_waitcnt lgkmcnt(6)
	v_lshrrev_b32_e32 v66, 16, v47
	v_mul_f16_sdwa v110, v0, v66 dst_sel:DWORD dst_unused:UNUSED_PAD src0_sel:WORD_1 src1_sel:DWORD
	s_waitcnt lgkmcnt(4)
	v_lshrrev_b32_e32 v67, 16, v60
	v_fma_f16 v110, v0, v47, v110
	v_mul_f16_sdwa v47, v0, v47 dst_sel:DWORD dst_unused:UNUSED_PAD src0_sel:WORD_1 src1_sel:DWORD
	v_fma_f16 v47, v0, v66, -v47
	v_mul_f16_sdwa v0, v1, v67 dst_sel:DWORD dst_unused:UNUSED_PAD src0_sel:WORD_1 src1_sel:DWORD
	s_waitcnt lgkmcnt(2)
	v_lshrrev_b32_e32 v87, 16, v55
	v_fma_f16 v66, v1, v60, v0
	v_mul_f16_sdwa v0, v1, v60 dst_sel:DWORD dst_unused:UNUSED_PAD src0_sel:WORD_1 src1_sel:DWORD
	v_fma_f16 v60, v1, v67, -v0
	v_mul_f16_sdwa v0, v2, v87 dst_sel:DWORD dst_unused:UNUSED_PAD src0_sel:WORD_1 src1_sel:DWORD
	v_lshrrev_b32_e32 v88, 16, v62
	v_fma_f16 v67, v2, v55, v0
	v_mul_f16_sdwa v0, v2, v55 dst_sel:DWORD dst_unused:UNUSED_PAD src0_sel:WORD_1 src1_sel:DWORD
	v_fma_f16 v55, v2, v87, -v0
	v_mul_f16_sdwa v0, v3, v88 dst_sel:DWORD dst_unused:UNUSED_PAD src0_sel:WORD_1 src1_sel:DWORD
	;; [unrolled: 5-line block ×4, first 2 shown]
	s_waitcnt lgkmcnt(1)
	v_lshrrev_b32_e32 v100, 16, v56
	v_fma_f16 v58, v13, v61, v0
	v_mul_f16_sdwa v0, v13, v61 dst_sel:DWORD dst_unused:UNUSED_PAD src0_sel:WORD_1 src1_sel:DWORD
	v_fma_f16 v13, v13, v99, -v0
	v_mul_f16_sdwa v0, v14, v100 dst_sel:DWORD dst_unused:UNUSED_PAD src0_sel:WORD_1 src1_sel:DWORD
	v_lshrrev_b32_e32 v101, 16, v63
	v_fma_f16 v61, v14, v56, v0
	v_mul_f16_sdwa v0, v14, v56 dst_sel:DWORD dst_unused:UNUSED_PAD src0_sel:WORD_1 src1_sel:DWORD
	v_fma_f16 v14, v14, v100, -v0
	v_mul_f16_sdwa v0, v15, v101 dst_sel:DWORD dst_unused:UNUSED_PAD src0_sel:WORD_1 src1_sel:DWORD
	;; [unrolled: 5-line block ×5, first 2 shown]
	s_waitcnt lgkmcnt(0)
	v_lshrrev_b32_e32 v109, 16, v64
	v_fma_f16 v54, v10, v57, v0
	v_mul_f16_sdwa v0, v10, v57 dst_sel:DWORD dst_unused:UNUSED_PAD src0_sel:WORD_1 src1_sel:DWORD
	v_fma_f16 v10, v10, v108, -v0
	v_mul_f16_sdwa v0, v11, v109 dst_sel:DWORD dst_unused:UNUSED_PAD src0_sel:WORD_1 src1_sel:DWORD
	v_fma_f16 v57, v11, v64, v0
	v_mul_f16_sdwa v0, v11, v64 dst_sel:DWORD dst_unused:UNUSED_PAD src0_sel:WORD_1 src1_sel:DWORD
	v_mul_f16_sdwa v1, v4, v51 dst_sel:DWORD dst_unused:UNUSED_PAD src0_sel:WORD_1 src1_sel:DWORD
	v_fma_f16 v11, v11, v109, -v0
	v_mul_f16_sdwa v0, v4, v104 dst_sel:DWORD dst_unused:UNUSED_PAD src0_sel:WORD_1 src1_sel:DWORD
	v_fma_f16 v2, v4, v104, -v1
	v_mul_f16_sdwa v1, v5, v97 dst_sel:DWORD dst_unused:UNUSED_PAD src0_sel:WORD_1 src1_sel:DWORD
	v_mul_f16_sdwa v3, v5, v52 dst_sel:DWORD dst_unused:UNUSED_PAD src0_sel:WORD_1 src1_sel:DWORD
	v_fma_f16 v0, v4, v51, v0
	v_fma_f16 v1, v5, v52, v1
	v_fma_f16 v4, v5, v97, -v3
	v_mul_f16_sdwa v3, v6, v98 dst_sel:DWORD dst_unused:UNUSED_PAD src0_sel:WORD_1 src1_sel:DWORD
	v_mul_f16_sdwa v5, v6, v53 dst_sel:DWORD dst_unused:UNUSED_PAD src0_sel:WORD_1 src1_sel:DWORD
	v_fma_f16 v3, v6, v53, v3
	v_fma_f16 v6, v6, v98, -v5
	v_mul_f16_sdwa v5, v7, v96 dst_sel:DWORD dst_unused:UNUSED_PAD src0_sel:WORD_1 src1_sel:DWORD
	v_mul_f16_sdwa v51, v7, v103 dst_sel:DWORD dst_unused:UNUSED_PAD src0_sel:WORD_1 src1_sel:DWORD
	v_fma_f16 v5, v7, v103, v5
	v_fma_f16 v7, v7, v96, -v51
	v_add_f16_e32 v51, v48, v110
	v_add_f16_e32 v51, v51, v66
	;; [unrolled: 1-line block ×5, first 2 shown]
	v_fma_f16 v51, v51, -0.5, v48
	v_sub_f16_e32 v52, v47, v62
	s_mov_b32 s2, 0xbb9c
	v_fma_f16 v53, v52, s2, v51
	v_sub_f16_e32 v90, v60, v55
	s_mov_b32 s3, 0xb8b4
	v_sub_f16_e32 v96, v110, v66
	v_sub_f16_e32 v97, v87, v67
	v_fma_f16 v51, v52, s13, v51
	v_fma_f16 v53, v90, s3, v53
	v_add_f16_e32 v96, v96, v97
	s_movk_i32 s12, 0x34f2
	v_fma_f16 v51, v90, s14, v51
	v_fma_f16 v97, v96, s12, v53
	;; [unrolled: 1-line block ×3, first 2 shown]
	v_add_f16_e32 v51, v110, v87
	v_lshrrev_b32_e32 v65, 16, v48
	v_fma_f16 v48, v51, -0.5, v48
	v_fma_f16 v51, v90, s13, v48
	v_sub_f16_e32 v53, v66, v110
	v_sub_f16_e32 v98, v67, v87
	v_fma_f16 v48, v90, s2, v48
	v_add_f16_e32 v53, v53, v98
	v_fma_f16 v48, v52, s14, v48
	v_fma_f16 v90, v53, s12, v48
	v_add_f16_e32 v48, v65, v47
	v_add_f16_e32 v48, v48, v60
	;; [unrolled: 1-line block ×3, first 2 shown]
	v_fma_f16 v51, v52, s3, v51
	v_add_f16_e32 v99, v48, v62
	v_add_f16_e32 v48, v60, v55
	v_fma_f16 v98, v53, s12, v51
	v_fma_f16 v48, v48, -0.5, v65
	v_sub_f16_e32 v51, v110, v87
	v_fma_f16 v52, v51, s13, v48
	v_sub_f16_e32 v53, v66, v67
	v_sub_f16_e32 v66, v47, v60
	;; [unrolled: 1-line block ×3, first 2 shown]
	v_fma_f16 v48, v51, s2, v48
	v_fma_f16 v52, v53, s14, v52
	v_add_f16_e32 v66, v66, v67
	v_fma_f16 v48, v53, s3, v48
	v_fma_f16 v67, v66, s12, v52
	;; [unrolled: 1-line block ×3, first 2 shown]
	v_add_f16_e32 v48, v47, v62
	v_fma_f16 v48, v48, -0.5, v65
	v_fma_f16 v52, v53, s2, v48
	v_sub_f16_e32 v47, v60, v47
	v_sub_f16_e32 v55, v55, v62
	v_fma_f16 v48, v53, s13, v48
	v_fma_f16 v52, v51, s14, v52
	v_add_f16_e32 v47, v47, v55
	v_fma_f16 v48, v51, s3, v48
	v_fma_f16 v55, v47, s12, v52
	;; [unrolled: 1-line block ×3, first 2 shown]
	v_add_f16_e32 v47, v49, v88
	v_add_f16_e32 v47, v47, v58
	;; [unrolled: 1-line block ×5, first 2 shown]
	v_fma_f16 v47, v47, -0.5, v49
	v_sub_f16_e32 v48, v12, v15
	v_fma_f16 v51, v48, s2, v47
	v_sub_f16_e32 v52, v13, v14
	v_sub_f16_e32 v53, v88, v58
	;; [unrolled: 1-line block ×3, first 2 shown]
	v_fma_f16 v47, v48, s13, v47
	v_add_f16_e32 v53, v53, v65
	v_fma_f16 v47, v52, s14, v47
	v_fma_f16 v87, v53, s12, v47
	v_add_f16_e32 v47, v88, v56
	v_fma_f16 v51, v52, s3, v51
	v_fma_f16 v47, v47, -0.5, v49
	v_lshrrev_b32_e32 v89, 16, v49
	v_fma_f16 v65, v53, s12, v51
	v_fma_f16 v49, v52, s13, v47
	v_sub_f16_e32 v51, v58, v88
	v_sub_f16_e32 v53, v61, v56
	v_fma_f16 v47, v52, s2, v47
	v_add_f16_e32 v51, v51, v53
	v_fma_f16 v47, v48, s14, v47
	v_fma_f16 v101, v51, s12, v47
	v_add_f16_e32 v47, v89, v12
	v_add_f16_e32 v47, v47, v13
	;; [unrolled: 1-line block ×5, first 2 shown]
	v_fma_f16 v49, v48, s3, v49
	v_fma_f16 v47, v47, -0.5, v89
	v_sub_f16_e32 v48, v88, v56
	v_fma_f16 v100, v51, s12, v49
	v_fma_f16 v49, v48, s13, v47
	v_sub_f16_e32 v51, v58, v61
	v_sub_f16_e32 v52, v12, v13
	;; [unrolled: 1-line block ×3, first 2 shown]
	v_fma_f16 v47, v48, s2, v47
	v_add_f16_e32 v52, v52, v53
	v_fma_f16 v47, v51, s3, v47
	v_fma_f16 v58, v52, s12, v47
	v_add_f16_e32 v47, v12, v15
	v_fma_f16 v49, v51, s14, v49
	v_fma_f16 v47, v47, -0.5, v89
	v_sub_f16_e32 v12, v13, v12
	v_sub_f16_e32 v13, v14, v15
	v_fma_f16 v56, v52, s12, v49
	v_fma_f16 v49, v51, s2, v47
	v_add_f16_e32 v12, v12, v13
	v_fma_f16 v13, v51, s13, v47
	v_fma_f16 v49, v48, s14, v49
	;; [unrolled: 1-line block ×5, first 2 shown]
	v_add_f16_e32 v12, v46, v63
	v_add_f16_e32 v12, v12, v59
	;; [unrolled: 1-line block ×5, first 2 shown]
	v_fma_f16 v12, v12, -0.5, v46
	v_sub_f16_e32 v13, v8, v11
	v_fma_f16 v14, v13, s2, v12
	v_sub_f16_e32 v15, v9, v10
	v_sub_f16_e32 v47, v63, v59
	;; [unrolled: 1-line block ×3, first 2 shown]
	v_fma_f16 v12, v13, s13, v12
	v_add_f16_e32 v47, v47, v48
	v_fma_f16 v12, v15, s14, v12
	v_fma_f16 v106, v47, s12, v12
	v_add_f16_e32 v12, v63, v57
	v_fma_f16 v14, v15, s3, v14
	v_fma_f16 v12, v12, -0.5, v46
	v_lshrrev_b32_e32 v105, 16, v46
	v_fma_f16 v104, v47, s12, v14
	v_fma_f16 v14, v15, s13, v12
	v_sub_f16_e32 v46, v59, v63
	v_sub_f16_e32 v47, v54, v57
	v_fma_f16 v12, v15, s2, v12
	v_add_f16_e32 v46, v46, v47
	v_fma_f16 v12, v13, s14, v12
	v_fma_f16 v108, v46, s12, v12
	v_add_f16_e32 v12, v105, v8
	v_add_f16_e32 v12, v12, v9
	;; [unrolled: 1-line block ×5, first 2 shown]
	v_fma_f16 v14, v13, s3, v14
	v_fma_f16 v12, v12, -0.5, v105
	v_sub_f16_e32 v13, v63, v57
	v_fma_f16 v107, v46, s12, v14
	v_fma_f16 v14, v13, s13, v12
	v_sub_f16_e32 v15, v59, v54
	v_sub_f16_e32 v46, v8, v9
	;; [unrolled: 1-line block ×3, first 2 shown]
	v_fma_f16 v12, v13, s2, v12
	v_add_f16_e32 v46, v46, v47
	v_fma_f16 v12, v15, s3, v12
	v_fma_f16 v59, v46, s12, v12
	v_add_f16_e32 v12, v8, v11
	v_fma_f16 v14, v15, s14, v14
	v_fma_f16 v12, v12, -0.5, v105
	v_sub_f16_e32 v8, v9, v8
	v_sub_f16_e32 v9, v10, v11
	v_fma_f16 v57, v46, s12, v14
	v_fma_f16 v14, v15, s2, v12
	v_add_f16_e32 v8, v8, v9
	v_fma_f16 v9, v15, s13, v12
	v_fma_f16 v14, v13, s14, v14
	;; [unrolled: 1-line block ×5, first 2 shown]
	v_add_f16_e32 v8, v1, v3
	v_fma_f16 v8, v8, -0.5, v50
	v_sub_f16_e32 v11, v2, v7
	v_fma_f16 v9, v11, s2, v8
	v_sub_f16_e32 v12, v4, v6
	v_sub_f16_e32 v10, v0, v1
	;; [unrolled: 1-line block ×3, first 2 shown]
	v_fma_f16 v9, v12, s3, v9
	v_add_f16_e32 v13, v10, v13
	v_fma_f16 v14, v13, s12, v9
	v_add_f16_e32 v9, v0, v5
	v_fma_f16 v9, v9, -0.5, v50
	v_pack_b32_f16 v55, v98, v55
	v_pack_b32_f16 v60, v90, v60
	v_fma_f16 v10, v12, s13, v9
	v_sub_f16_e32 v15, v1, v0
	v_sub_f16_e32 v46, v3, v5
	s_barrier
	ds_write2_b32 v91, v55, v60 offset0:10 offset1:15
	v_pack_b32_f16 v55, v96, v66
	v_fma_f16 v10, v11, s3, v10
	v_add_f16_e32 v51, v15, v46
	v_sub_f16_e32 v47, v2, v4
	v_sub_f16_e32 v48, v7, v6
	v_pack_b32_f16 v64, v64, v99
	v_pack_b32_f16 v67, v97, v67
	ds_write_b32 v91, v55 offset:80
	v_pack_b32_f16 v55, v62, v103
	v_pack_b32_f16 v56, v65, v56
	v_fma_f16 v15, v51, s12, v10
	v_add_f16_e32 v10, v4, v6
	v_add_f16_e32 v53, v47, v48
	;; [unrolled: 1-line block ×3, first 2 shown]
	ds_write2_b32 v91, v64, v67 offset1:5
	ds_write2_b32 v93, v55, v56 offset1:5
	v_pack_b32_f16 v55, v100, v61
	v_pack_b32_f16 v56, v101, v88
	v_fma_f16 v10, v10, -0.5, v102
	v_sub_f16_e32 v49, v0, v5
	v_sub_f16_e32 v52, v1, v3
	v_fma_f16 v48, v47, -0.5, v102
	ds_write2_b32 v93, v55, v56 offset0:10 offset1:15
	v_pack_b32_f16 v55, v87, v58
	v_fma_f16 v46, v49, s13, v10
	v_fma_f16 v47, v52, s2, v48
	v_sub_f16_e32 v54, v4, v2
	v_sub_f16_e32 v110, v6, v7
	ds_write_b32 v93, v55 offset:80
	v_pack_b32_f16 v55, v89, v109
	v_pack_b32_f16 v56, v104, v57
	v_fma_f16 v46, v52, s14, v46
	v_fma_f16 v47, v49, s14, v47
	v_add_f16_e32 v54, v54, v110
	ds_write2_b32 v94, v55, v56 offset1:5
	v_pack_b32_f16 v55, v107, v63
	v_pack_b32_f16 v56, v108, v105
	v_fma_f16 v46, v53, s12, v46
	v_fma_f16 v47, v54, s12, v47
	ds_write2_b32 v94, v55, v56 offset0:10 offset1:15
	v_pack_b32_f16 v55, v106, v59
	ds_write_b32 v94, v55 offset:80
	s_and_saveexec_b64 s[2:3], s[0:1]
	s_cbranch_execz .LBB0_25
; %bb.24:
	v_add_f16_e32 v2, v2, v102
	v_add_f16_e32 v0, v0, v50
	v_mul_f16_e32 v56, 0x38b4, v12
	v_mul_f16_e32 v12, 0x3b9c, v12
	;; [unrolled: 1-line block ×4, first 2 shown]
	v_add_f16_e32 v2, v4, v2
	v_add_f16_e32 v0, v1, v0
	v_mul_f16_e32 v55, 0x3b9c, v11
	v_mul_f16_e32 v11, 0x38b4, v11
	;; [unrolled: 1-line block ×4, first 2 shown]
	v_add_f16_e32 v2, v6, v2
	v_add_f16_e32 v0, v3, v0
	;; [unrolled: 1-line block ×3, first 2 shown]
	v_sub_f16_e32 v4, v9, v12
	v_mul_f16_e32 v51, 0x34f2, v51
	v_mul_f16_e32 v54, 0x34f2, v54
	v_add_f16_e32 v2, v7, v2
	v_add_f16_e32 v0, v5, v0
	v_sub_f16_e32 v1, v1, v49
	v_sub_f16_e32 v3, v10, v57
	v_add_f16_e32 v4, v11, v4
	v_add_f16_e32 v5, v8, v55
	s_mov_b32 s12, 0x5040100
	v_mul_f16_e32 v13, 0x34f2, v13
	v_mul_f16_e32 v53, 0x34f2, v53
	v_add_f16_e32 v1, v54, v1
	v_sub_f16_e32 v3, v3, v58
	v_add_f16_e32 v4, v51, v4
	v_add_f16_e32 v5, v56, v5
	v_lshl_add_u32 v6, v92, 2, v86
	v_pack_b32_f16 v0, v0, v2
	v_perm_b32 v2, v46, v14, s12
	v_add_f16_e32 v3, v53, v3
	v_add_f16_e32 v5, v13, v5
	ds_write2_b32 v6, v0, v2 offset1:5
	v_perm_b32 v0, v47, v15, s12
	v_pack_b32_f16 v1, v4, v1
	ds_write2_b32 v6, v0, v1 offset0:10 offset1:15
	v_pack_b32_f16 v0, v5, v3
	ds_write_b32 v6, v0 offset:80
.LBB0_25:
	s_or_b64 exec, exec, s[2:3]
	s_waitcnt lgkmcnt(0)
	s_barrier
	ds_read2_b32 v[0:1], v68 offset1:75
	ds_read2_b32 v[2:3], v68 offset0:150 offset1:225
	v_add_u32_e32 v54, 0x400, v68
	ds_read2_b32 v[4:5], v54 offset0:44 offset1:119
	v_add_u32_e32 v55, 0x600, v68
	s_waitcnt lgkmcnt(2)
	v_lshrrev_b32_e32 v51, 16, v1
	v_mul_f16_sdwa v88, v16, v51 dst_sel:DWORD dst_unused:UNUSED_PAD src0_sel:WORD_1 src1_sel:DWORD
	s_waitcnt lgkmcnt(1)
	v_lshrrev_b32_e32 v52, 16, v2
	v_fma_f16 v88, v16, v1, v88
	v_mul_f16_sdwa v1, v16, v1 dst_sel:DWORD dst_unused:UNUSED_PAD src0_sel:WORD_1 src1_sel:DWORD
	v_fma_f16 v1, v16, v51, -v1
	v_mul_f16_sdwa v16, v17, v52 dst_sel:DWORD dst_unused:UNUSED_PAD src0_sel:WORD_1 src1_sel:DWORD
	v_lshrrev_b32_e32 v53, 16, v3
	v_fma_f16 v16, v17, v2, v16
	v_mul_f16_sdwa v2, v17, v2 dst_sel:DWORD dst_unused:UNUSED_PAD src0_sel:WORD_1 src1_sel:DWORD
	ds_read2_b32 v[6:7], v55 offset0:66 offset1:141
	v_fma_f16 v2, v17, v52, -v2
	v_mul_f16_sdwa v17, v18, v53 dst_sel:DWORD dst_unused:UNUSED_PAD src0_sel:WORD_1 src1_sel:DWORD
	s_waitcnt lgkmcnt(1)
	v_lshrrev_b32_e32 v57, 16, v4
	v_fma_f16 v17, v18, v3, v17
	v_mul_f16_sdwa v3, v18, v3 dst_sel:DWORD dst_unused:UNUSED_PAD src0_sel:WORD_1 src1_sel:DWORD
	v_fma_f16 v3, v18, v53, -v3
	v_mul_f16_sdwa v18, v19, v57 dst_sel:DWORD dst_unused:UNUSED_PAD src0_sel:WORD_1 src1_sel:DWORD
	v_add_u32_e32 v56, 0x800, v68
	v_lshrrev_b32_e32 v58, 16, v5
	v_fma_f16 v18, v19, v4, v18
	v_mul_f16_sdwa v4, v19, v4 dst_sel:DWORD dst_unused:UNUSED_PAD src0_sel:WORD_1 src1_sel:DWORD
	ds_read2_b32 v[8:9], v56 offset0:88 offset1:163
	v_fma_f16 v4, v19, v57, -v4
	v_mul_f16_sdwa v19, v20, v58 dst_sel:DWORD dst_unused:UNUSED_PAD src0_sel:WORD_1 src1_sel:DWORD
	s_waitcnt lgkmcnt(1)
	v_lshrrev_b32_e32 v59, 16, v6
	v_fma_f16 v19, v20, v5, v19
	v_mul_f16_sdwa v5, v20, v5 dst_sel:DWORD dst_unused:UNUSED_PAD src0_sel:WORD_1 src1_sel:DWORD
	v_fma_f16 v5, v20, v58, -v5
	v_mul_f16_sdwa v20, v21, v59 dst_sel:DWORD dst_unused:UNUSED_PAD src0_sel:WORD_1 src1_sel:DWORD
	v_lshrrev_b32_e32 v60, 16, v7
	v_add_u32_e32 v10, 0xa00, v68
	v_fma_f16 v20, v21, v6, v20
	v_mul_f16_sdwa v6, v21, v6 dst_sel:DWORD dst_unused:UNUSED_PAD src0_sel:WORD_1 src1_sel:DWORD
	ds_read2_b32 v[10:11], v10 offset0:110 offset1:185
	v_fma_f16 v6, v21, v59, -v6
	v_mul_f16_sdwa v21, v22, v60 dst_sel:DWORD dst_unused:UNUSED_PAD src0_sel:WORD_1 src1_sel:DWORD
	s_waitcnt lgkmcnt(1)
	v_lshrrev_b32_e32 v61, 16, v8
	v_fma_f16 v21, v22, v7, v21
	v_mul_f16_sdwa v7, v22, v7 dst_sel:DWORD dst_unused:UNUSED_PAD src0_sel:WORD_1 src1_sel:DWORD
	v_fma_f16 v7, v22, v60, -v7
	v_mul_f16_sdwa v22, v23, v61 dst_sel:DWORD dst_unused:UNUSED_PAD src0_sel:WORD_1 src1_sel:DWORD
	v_lshrrev_b32_e32 v62, 16, v9
	v_add_u32_e32 v63, 0xc00, v68
	v_fma_f16 v22, v23, v8, v22
	v_mul_f16_sdwa v8, v23, v8 dst_sel:DWORD dst_unused:UNUSED_PAD src0_sel:WORD_1 src1_sel:DWORD
	ds_read2_b32 v[12:13], v63 offset0:132 offset1:207
	v_fma_f16 v8, v23, v61, -v8
	v_mul_f16_sdwa v23, v24, v62 dst_sel:DWORD dst_unused:UNUSED_PAD src0_sel:WORD_1 src1_sel:DWORD
	s_waitcnt lgkmcnt(1)
	v_lshrrev_b32_e32 v64, 16, v10
	v_fma_f16 v23, v24, v9, v23
	v_mul_f16_sdwa v9, v24, v9 dst_sel:DWORD dst_unused:UNUSED_PAD src0_sel:WORD_1 src1_sel:DWORD
	v_fma_f16 v9, v24, v62, -v9
	v_mul_f16_sdwa v24, v25, v64 dst_sel:DWORD dst_unused:UNUSED_PAD src0_sel:WORD_1 src1_sel:DWORD
	v_add_u32_e32 v48, 0x1000, v68
	v_lshrrev_b32_e32 v65, 16, v11
	v_fma_f16 v24, v25, v10, v24
	v_mul_f16_sdwa v10, v25, v10 dst_sel:DWORD dst_unused:UNUSED_PAD src0_sel:WORD_1 src1_sel:DWORD
	ds_read2_b32 v[48:49], v48 offset0:26 offset1:101
	v_fma_f16 v10, v25, v64, -v10
	v_mul_f16_sdwa v25, v26, v65 dst_sel:DWORD dst_unused:UNUSED_PAD src0_sel:WORD_1 src1_sel:DWORD
	s_waitcnt lgkmcnt(1)
	v_lshrrev_b32_e32 v66, 16, v12
	v_fma_f16 v25, v26, v11, v25
	v_mul_f16_sdwa v11, v26, v11 dst_sel:DWORD dst_unused:UNUSED_PAD src0_sel:WORD_1 src1_sel:DWORD
	v_fma_f16 v11, v26, v65, -v11
	v_mul_f16_sdwa v26, v27, v66 dst_sel:DWORD dst_unused:UNUSED_PAD src0_sel:WORD_1 src1_sel:DWORD
	v_lshrrev_b32_e32 v67, 16, v13
	v_fma_f16 v26, v27, v12, v26
	v_mul_f16_sdwa v12, v27, v12 dst_sel:DWORD dst_unused:UNUSED_PAD src0_sel:WORD_1 src1_sel:DWORD
	v_fma_f16 v12, v27, v66, -v12
	v_mul_f16_sdwa v27, v28, v67 dst_sel:DWORD dst_unused:UNUSED_PAD src0_sel:WORD_1 src1_sel:DWORD
	s_waitcnt lgkmcnt(0)
	v_lshrrev_b32_e32 v86, 16, v48
	v_fma_f16 v27, v28, v13, v27
	v_mul_f16_sdwa v13, v28, v13 dst_sel:DWORD dst_unused:UNUSED_PAD src0_sel:WORD_1 src1_sel:DWORD
	v_fma_f16 v13, v28, v67, -v13
	v_mul_f16_sdwa v28, v29, v86 dst_sel:DWORD dst_unused:UNUSED_PAD src0_sel:WORD_1 src1_sel:DWORD
	v_lshrrev_b32_e32 v87, 16, v49
	v_fma_f16 v28, v29, v48, v28
	v_mul_f16_sdwa v48, v29, v48 dst_sel:DWORD dst_unused:UNUSED_PAD src0_sel:WORD_1 src1_sel:DWORD
	v_lshrrev_b32_e32 v50, 16, v0
	v_fma_f16 v29, v29, v86, -v48
	v_mul_f16_sdwa v48, v30, v87 dst_sel:DWORD dst_unused:UNUSED_PAD src0_sel:WORD_1 src1_sel:DWORD
	v_fma_f16 v48, v30, v49, v48
	v_mul_f16_sdwa v49, v30, v49 dst_sel:DWORD dst_unused:UNUSED_PAD src0_sel:WORD_1 src1_sel:DWORD
	v_sub_f16_e32 v22, v0, v22
	v_sub_f16_e32 v8, v50, v8
	;; [unrolled: 1-line block ×8, first 2 shown]
	v_fma_f16 v30, v30, v87, -v49
	v_fma_f16 v18, v18, 2.0, -v26
	v_fma_f16 v4, v4, 2.0, -v12
	;; [unrolled: 1-line block ×4, first 2 shown]
	v_add_f16_e32 v12, v22, v12
	v_sub_f16_e32 v26, v8, v26
	v_add_f16_e32 v29, v24, v29
	v_sub_f16_e32 v28, v10, v28
	v_fma_f16 v0, v0, 2.0, -v22
	v_fma_f16 v49, v50, 2.0, -v8
	;; [unrolled: 1-line block ×4, first 2 shown]
	v_sub_f16_e32 v23, v88, v23
	v_sub_f16_e32 v9, v1, v9
	;; [unrolled: 1-line block ×8, first 2 shown]
	v_fma_f16 v22, v22, 2.0, -v12
	v_fma_f16 v8, v8, 2.0, -v26
	;; [unrolled: 1-line block ×4, first 2 shown]
	s_mov_b32 s2, 0xb9a8
	v_fma_f16 v19, v19, 2.0, -v27
	v_fma_f16 v5, v5, 2.0, -v13
	;; [unrolled: 1-line block ×4, first 2 shown]
	v_add_f16_e32 v13, v23, v13
	v_sub_f16_e32 v27, v9, v27
	v_add_f16_e32 v30, v25, v30
	v_sub_f16_e32 v48, v11, v48
	v_fma_f16 v51, v24, s2, v22
	v_fma_f16 v52, v10, s2, v8
	s_movk_i32 s3, 0x39a8
	v_fma_f16 v50, v88, 2.0, -v23
	v_fma_f16 v1, v1, 2.0, -v9
	;; [unrolled: 1-line block ×8, first 2 shown]
	v_fma_f16 v10, v10, s3, v51
	v_fma_f16 v24, v24, s2, v52
	;; [unrolled: 1-line block ×8, first 2 shown]
	v_sub_f16_e32 v18, v0, v18
	v_sub_f16_e32 v4, v49, v4
	;; [unrolled: 1-line block ×8, first 2 shown]
	v_fma_f16 v11, v11, s3, v51
	v_fma_f16 v25, v25, s2, v52
	v_fma_f16 v16, v16, 2.0, -v20
	v_fma_f16 v2, v2, 2.0, -v6
	;; [unrolled: 1-line block ×6, first 2 shown]
	v_add_f16_e32 v6, v18, v6
	v_sub_f16_e32 v20, v4, v20
	v_fma_f16 v23, v23, 2.0, -v11
	v_fma_f16 v9, v9, 2.0, -v25
	v_add_f16_e32 v7, v19, v7
	v_sub_f16_e32 v21, v5, v21
	v_fma_f16 v51, v30, s3, v13
	v_fma_f16 v52, v48, s3, v27
	s_mov_b32 s12, 0xbb64
	v_fma_f16 v0, v0, 2.0, -v18
	v_fma_f16 v49, v49, 2.0, -v4
	;; [unrolled: 1-line block ×8, first 2 shown]
	v_fma_f16 v48, v48, s3, v51
	v_fma_f16 v30, v30, s2, v52
	;; [unrolled: 1-line block ×4, first 2 shown]
	s_movk_i32 s13, 0x361f
	s_mov_b32 s14, 0xb61f
	v_sub_f16_e32 v16, v0, v16
	v_sub_f16_e32 v2, v49, v2
	v_fma_f16 v12, v12, 2.0, -v28
	v_fma_f16 v26, v26, 2.0, -v29
	v_sub_f16_e32 v17, v50, v17
	v_sub_f16_e32 v3, v1, v3
	v_fma_f16 v13, v13, 2.0, -v48
	v_fma_f16 v27, v27, 2.0, -v30
	v_fma_f16 v9, v9, s13, v51
	v_fma_f16 v23, v23, s14, v52
	v_fma_f16 v51, v19, s2, v18
	v_fma_f16 v52, v5, s2, v4
	v_fma_f16 v0, v0, 2.0, -v16
	v_fma_f16 v49, v49, 2.0, -v2
	;; [unrolled: 1-line block ×4, first 2 shown]
	v_fma_f16 v5, v5, s3, v51
	v_fma_f16 v19, v19, s2, v52
	;; [unrolled: 1-line block ×4, first 2 shown]
	s_movk_i32 s15, 0x3b64
	v_add_f16_e32 v3, v16, v3
	v_sub_f16_e32 v50, v0, v50
	v_sub_f16_e32 v1, v49, v1
	v_fma_f16 v27, v27, s15, v51
	v_fma_f16 v13, v13, s12, v52
	v_sub_f16_e32 v51, v2, v17
	v_fma_f16 v52, v16, 2.0, -v3
	v_fma_f16 v16, v11, s13, v10
	v_fma_f16 v17, v25, s13, v24
	v_fma_f16 v0, v0, 2.0, -v50
	v_fma_f16 v49, v49, 2.0, -v1
	;; [unrolled: 1-line block ×4, first 2 shown]
	v_fma_f16 v25, v25, s15, v16
	v_fma_f16 v11, v11, s12, v17
	;; [unrolled: 1-line block ×4, first 2 shown]
	v_fma_f16 v18, v18, 2.0, -v5
	v_fma_f16 v4, v4, 2.0, -v19
	v_fma_f16 v12, v12, 2.0, -v27
	v_fma_f16 v26, v26, 2.0, -v13
	v_fma_f16 v21, v21, s3, v16
	v_fma_f16 v7, v7, s2, v17
	;; [unrolled: 1-line block ×4, first 2 shown]
	v_pack_b32_f16 v0, v0, v49
	v_pack_b32_f16 v8, v22, v8
	v_fma_f16 v2, v2, 2.0, -v51
	v_fma_f16 v10, v10, 2.0, -v25
	;; [unrolled: 1-line block ×3, first 2 shown]
	v_fma_f16 v16, v30, s13, v16
	v_fma_f16 v17, v48, s14, v17
	s_barrier
	ds_write2_b32 v95, v0, v8 offset1:25
	v_pack_b32_f16 v0, v18, v4
	v_pack_b32_f16 v4, v12, v26
	v_fma_f16 v6, v6, 2.0, -v21
	v_fma_f16 v20, v20, 2.0, -v7
	;; [unrolled: 1-line block ×4, first 2 shown]
	ds_write2_b32 v95, v0, v4 offset0:50 offset1:75
	v_pack_b32_f16 v0, v52, v2
	v_pack_b32_f16 v2, v10, v24
	ds_write2_b32 v95, v0, v2 offset0:100 offset1:125
	v_pack_b32_f16 v0, v6, v20
	v_pack_b32_f16 v2, v28, v29
	;; [unrolled: 3-line block ×4, first 2 shown]
	v_add_u32_e32 v2, 0x200, v95
	ds_write2_b32 v2, v0, v1 offset0:122 offset1:147
	v_pack_b32_f16 v0, v3, v51
	v_pack_b32_f16 v1, v25, v11
	v_add_u32_e32 v2, 0x400, v95
	ds_write2_b32 v2, v0, v1 offset0:44 offset1:69
	v_pack_b32_f16 v0, v21, v7
	v_pack_b32_f16 v1, v16, v17
	ds_write2_b32 v2, v0, v1 offset0:94 offset1:119
	s_waitcnt lgkmcnt(0)
	s_barrier
	ds_read2_b32 v[4:5], v68 offset1:75
	ds_read2_b32 v[0:1], v54 offset0:44 offset1:144
	ds_read2_b32 v[12:13], v63 offset0:32 offset1:107
	;; [unrolled: 1-line block ×4, first 2 shown]
	v_add_u32_e32 v6, 0xe00, v68
	ds_read2_b32 v[8:9], v6 offset0:54 offset1:129
	ds_read2_b32 v[6:7], v56 offset0:113 offset1:188
	ds_read_b32 v21, v68 offset:4400
	v_add_u32_e32 v20, 0x258, v68
	v_add_u32_e32 v19, 0x384, v68
	;; [unrolled: 1-line block ×3, first 2 shown]
	s_and_saveexec_b64 s[2:3], s[4:5]
	s_cbranch_execz .LBB0_27
; %bb.26:
	ds_read_b32 v16, v68 offset:1500
	ds_read_b32 v14, v68 offset:3100
	;; [unrolled: 1-line block ×3, first 2 shown]
	s_waitcnt lgkmcnt(2)
	v_lshrrev_b32_e32 v17, 16, v16
	s_waitcnt lgkmcnt(1)
	v_lshrrev_b32_e32 v46, 16, v14
	;; [unrolled: 2-line block ×3, first 2 shown]
.LBB0_27:
	s_or_b64 exec, exec, s[2:3]
	s_waitcnt lgkmcnt(6)
	v_lshrrev_b32_e32 v23, 16, v1
	v_mul_f16_sdwa v54, v36, v23 dst_sel:DWORD dst_unused:UNUSED_PAD src0_sel:WORD_1 src1_sel:DWORD
	s_waitcnt lgkmcnt(5)
	v_lshrrev_b32_e32 v24, 16, v12
	v_fma_f16 v54, v36, v1, v54
	v_mul_f16_sdwa v1, v36, v1 dst_sel:DWORD dst_unused:UNUSED_PAD src0_sel:WORD_1 src1_sel:DWORD
	v_fma_f16 v1, v36, v23, -v1
	v_mul_f16_sdwa v23, v37, v24 dst_sel:DWORD dst_unused:UNUSED_PAD src0_sel:WORD_1 src1_sel:DWORD
	s_waitcnt lgkmcnt(4)
	v_lshrrev_b32_e32 v26, 16, v10
	v_fma_f16 v23, v37, v12, v23
	v_mul_f16_sdwa v12, v37, v12 dst_sel:DWORD dst_unused:UNUSED_PAD src0_sel:WORD_1 src1_sel:DWORD
	v_fma_f16 v12, v37, v24, -v12
	v_mul_f16_sdwa v24, v38, v26 dst_sel:DWORD dst_unused:UNUSED_PAD src0_sel:WORD_1 src1_sel:DWORD
	v_lshrrev_b32_e32 v27, 16, v13
	v_fma_f16 v24, v38, v10, v24
	v_mul_f16_sdwa v10, v38, v10 dst_sel:DWORD dst_unused:UNUSED_PAD src0_sel:WORD_1 src1_sel:DWORD
	v_fma_f16 v10, v38, v26, -v10
	v_mul_f16_sdwa v26, v39, v27 dst_sel:DWORD dst_unused:UNUSED_PAD src0_sel:WORD_1 src1_sel:DWORD
	v_lshrrev_b32_e32 v29, 16, v11
	v_fma_f16 v26, v39, v13, v26
	v_mul_f16_sdwa v13, v39, v13 dst_sel:DWORD dst_unused:UNUSED_PAD src0_sel:WORD_1 src1_sel:DWORD
	v_fma_f16 v13, v39, v27, -v13
	v_mul_f16_sdwa v27, v40, v29 dst_sel:DWORD dst_unused:UNUSED_PAD src0_sel:WORD_1 src1_sel:DWORD
	s_waitcnt lgkmcnt(2)
	v_lshrrev_b32_e32 v30, 16, v8
	v_fma_f16 v27, v40, v11, v27
	v_mul_f16_sdwa v11, v40, v11 dst_sel:DWORD dst_unused:UNUSED_PAD src0_sel:WORD_1 src1_sel:DWORD
	v_fma_f16 v11, v40, v29, -v11
	v_mul_f16_sdwa v29, v41, v30 dst_sel:DWORD dst_unused:UNUSED_PAD src0_sel:WORD_1 src1_sel:DWORD
	v_add_f16_e32 v40, v54, v23
	v_lshrrev_b32_e32 v22, 16, v4
	v_fma_f16 v29, v41, v8, v29
	v_mul_f16_sdwa v8, v41, v8 dst_sel:DWORD dst_unused:UNUSED_PAD src0_sel:WORD_1 src1_sel:DWORD
	v_add_f16_e32 v39, v4, v54
	v_fma_f16 v4, v40, -0.5, v4
	v_sub_f16_e32 v40, v1, v12
	s_mov_b32 s12, 0xbaee
	s_movk_i32 s13, 0x3aee
	s_waitcnt lgkmcnt(1)
	v_lshrrev_b32_e32 v49, 16, v6
	v_fma_f16 v8, v41, v30, -v8
	v_fma_f16 v41, v40, s12, v4
	v_fma_f16 v4, v40, s13, v4
	v_add_f16_e32 v40, v22, v1
	v_add_f16_e32 v1, v1, v12
	v_mul_f16_sdwa v30, v42, v49 dst_sel:DWORD dst_unused:UNUSED_PAD src0_sel:WORD_1 src1_sel:DWORD
	v_add_f16_e32 v39, v39, v23
	v_add_f16_e32 v40, v40, v12
	v_fma_f16 v1, v1, -0.5, v22
	v_sub_f16_e32 v12, v54, v23
	v_add_f16_e32 v23, v24, v26
	v_lshrrev_b32_e32 v25, 16, v5
	v_fma_f16 v30, v42, v6, v30
	v_mul_f16_sdwa v6, v42, v6 dst_sel:DWORD dst_unused:UNUSED_PAD src0_sel:WORD_1 src1_sel:DWORD
	v_fma_f16 v22, v12, s13, v1
	v_fma_f16 v1, v12, s12, v1
	v_add_f16_e32 v12, v5, v24
	v_fma_f16 v5, v23, -0.5, v5
	v_sub_f16_e32 v23, v10, v13
	v_fma_f16 v6, v42, v49, -v6
	v_fma_f16 v42, v23, s12, v5
	v_fma_f16 v5, v23, s13, v5
	v_add_f16_e32 v23, v25, v10
	v_add_f16_e32 v10, v10, v13
	;; [unrolled: 1-line block ×3, first 2 shown]
	v_fma_f16 v10, v10, -0.5, v25
	v_sub_f16_e32 v13, v24, v26
	v_add_f16_e32 v25, v27, v29
	v_lshrrev_b32_e32 v28, 16, v2
	v_lshrrev_b32_e32 v50, 16, v9
	v_fma_f16 v24, v13, s13, v10
	v_fma_f16 v10, v13, s12, v10
	v_add_f16_e32 v13, v2, v27
	v_fma_f16 v2, v25, -0.5, v2
	v_sub_f16_e32 v25, v11, v8
	v_mul_f16_sdwa v36, v43, v50 dst_sel:DWORD dst_unused:UNUSED_PAD src0_sel:WORD_1 src1_sel:DWORD
	v_add_f16_e32 v12, v12, v26
	v_fma_f16 v26, v25, s12, v2
	v_fma_f16 v2, v25, s13, v2
	v_add_f16_e32 v25, v28, v11
	v_fma_f16 v36, v43, v9, v36
	v_mul_f16_sdwa v9, v43, v9 dst_sel:DWORD dst_unused:UNUSED_PAD src0_sel:WORD_1 src1_sel:DWORD
	v_add_f16_e32 v25, v25, v8
	v_add_f16_e32 v8, v11, v8
	v_lshrrev_b32_e32 v52, 16, v7
	s_waitcnt lgkmcnt(0)
	v_lshrrev_b32_e32 v53, 16, v21
	v_fma_f16 v9, v43, v50, -v9
	v_fma_f16 v8, v8, -0.5, v28
	v_sub_f16_e32 v11, v27, v29
	v_add_f16_e32 v28, v30, v36
	v_lshrrev_b32_e32 v48, 16, v3
	v_mul_f16_sdwa v37, v44, v52 dst_sel:DWORD dst_unused:UNUSED_PAD src0_sel:WORD_1 src1_sel:DWORD
	v_mul_f16_sdwa v38, v45, v53 dst_sel:DWORD dst_unused:UNUSED_PAD src0_sel:WORD_1 src1_sel:DWORD
	v_fma_f16 v27, v11, s13, v8
	v_fma_f16 v8, v11, s12, v8
	v_add_f16_e32 v11, v3, v30
	v_fma_f16 v3, v28, -0.5, v3
	v_sub_f16_e32 v28, v6, v9
	v_fma_f16 v37, v44, v7, v37
	v_mul_f16_sdwa v7, v44, v7 dst_sel:DWORD dst_unused:UNUSED_PAD src0_sel:WORD_1 src1_sel:DWORD
	v_fma_f16 v38, v45, v21, v38
	v_mul_f16_sdwa v21, v45, v21 dst_sel:DWORD dst_unused:UNUSED_PAD src0_sel:WORD_1 src1_sel:DWORD
	v_add_f16_e32 v13, v13, v29
	v_fma_f16 v29, v28, s12, v3
	v_fma_f16 v3, v28, s13, v3
	v_add_f16_e32 v28, v48, v6
	v_add_f16_e32 v6, v6, v9
	v_fma_f16 v7, v44, v52, -v7
	v_fma_f16 v21, v45, v53, -v21
	v_add_f16_e32 v11, v11, v36
	v_add_f16_e32 v28, v28, v9
	v_fma_f16 v6, v6, -0.5, v48
	v_sub_f16_e32 v9, v30, v36
	v_add_f16_e32 v36, v37, v38
	v_lshrrev_b32_e32 v51, 16, v0
	v_fma_f16 v30, v9, s13, v6
	v_fma_f16 v6, v9, s12, v6
	v_add_f16_e32 v9, v0, v37
	v_fma_f16 v0, v36, -0.5, v0
	v_sub_f16_e32 v36, v7, v21
	v_fma_f16 v43, v36, s12, v0
	v_fma_f16 v0, v36, s13, v0
	v_add_f16_e32 v36, v51, v7
	v_add_f16_e32 v7, v7, v21
	;; [unrolled: 1-line block ×3, first 2 shown]
	v_fma_f16 v7, v7, -0.5, v51
	v_sub_f16_e32 v21, v37, v38
	v_fma_f16 v37, v21, s13, v7
	v_fma_f16 v7, v21, s12, v7
	v_pack_b32_f16 v21, v39, v40
	v_pack_b32_f16 v1, v4, v1
	ds_write_b32 v68, v21
	v_pack_b32_f16 v21, v41, v22
	ds_write_b32 v85, v1 offset:3200
	v_pack_b32_f16 v1, v12, v23
	ds_write_b32 v85, v21 offset:1600
	ds_write_b32 v68, v1 offset:300
	v_pack_b32_f16 v1, v42, v24
	ds_write_b32 v85, v1 offset:1900
	v_pack_b32_f16 v1, v5, v10
	;; [unrolled: 2-line block ×7, first 2 shown]
	v_add_f16_e32 v9, v9, v38
	ds_write_b32 v19, v1 offset:1600
	v_pack_b32_f16 v1, v3, v6
	ds_write_b32 v19, v1 offset:3200
	v_pack_b32_f16 v1, v9, v36
	;; [unrolled: 2-line block ×3, first 2 shown]
	v_pack_b32_f16 v0, v0, v7
	ds_write_b32 v18, v1 offset:1600
	ds_write_b32 v18, v0 offset:3200
	s_and_saveexec_b64 s[2:3], s[4:5]
	s_cbranch_execz .LBB0_29
; %bb.28:
	v_mul_f16_sdwa v0, v35, v15 dst_sel:DWORD dst_unused:UNUSED_PAD src0_sel:WORD_1 src1_sel:DWORD
	v_mul_f16_sdwa v1, v34, v14 dst_sel:DWORD dst_unused:UNUSED_PAD src0_sel:WORD_1 src1_sel:DWORD
	v_mul_f16_sdwa v3, v34, v46 dst_sel:DWORD dst_unused:UNUSED_PAD src0_sel:WORD_1 src1_sel:DWORD
	v_mul_f16_sdwa v5, v35, v47 dst_sel:DWORD dst_unused:UNUSED_PAD src0_sel:WORD_1 src1_sel:DWORD
	v_fma_f16 v0, v35, v47, -v0
	v_fma_f16 v1, v34, v46, -v1
	v_fma_f16 v3, v34, v14, v3
	v_fma_f16 v5, v35, v15, v5
	v_add_f16_e32 v2, v1, v17
	v_add_f16_e32 v4, v3, v16
	;; [unrolled: 1-line block ×3, first 2 shown]
	v_sub_f16_e32 v7, v3, v5
	v_add_f16_e32 v3, v3, v5
	v_add_f16_e32 v2, v0, v2
	v_fma_f16 v6, v6, -0.5, v17
	v_fma_f16 v3, v3, -0.5, v16
	v_sub_f16_e32 v0, v1, v0
	v_fma_f16 v8, v7, s12, v6
	v_fma_f16 v6, v7, s13, v6
	;; [unrolled: 1-line block ×4, first 2 shown]
	v_add_f16_e32 v4, v4, v5
	v_pack_b32_f16 v0, v0, v6
	v_pack_b32_f16 v2, v4, v2
	ds_write_b32 v68, v0 offset:3100
	v_pack_b32_f16 v0, v1, v8
	ds_write_b32 v68, v2 offset:1500
	ds_write_b32 v68, v0 offset:4700
.LBB0_29:
	s_or_b64 exec, exec, s[2:3]
	s_waitcnt lgkmcnt(0)
	s_barrier
	ds_read2_b32 v[2:3], v68 offset1:75
	s_mov_b32 s12, 0xb4e81b4f
	s_mov_b32 s13, 0x3f4b4e81
	v_mad_u64_u32 v[4:5], s[2:3], s10, v33, 0
	s_waitcnt lgkmcnt(0)
	v_lshrrev_b32_e32 v7, 16, v2
	v_mul_f16_sdwa v0, v84, v7 dst_sel:DWORD dst_unused:UNUSED_PAD src0_sel:WORD_1 src1_sel:DWORD
	v_fma_f16 v0, v84, v2, v0
	v_cvt_f32_f16_e32 v0, v0
	s_movk_i32 s15, 0x1ff
	v_mad_u64_u32 v[5:6], s[2:3], s11, v33, v[5:6]
	v_cvt_f64_f32_e32 v[0:1], v0
	s_movk_i32 s10, 0xffe
	v_mul_f16_sdwa v2, v84, v2 dst_sel:DWORD dst_unused:UNUSED_PAD src0_sel:WORD_1 src1_sel:DWORD
	v_fma_f16 v2, v84, v7, -v2
	v_mul_f64 v[0:1], v[0:1], s[12:13]
	v_cvt_f32_f16_e32 v2, v2
	s_movk_i32 s11, 0x40f
	s_mov_b32 s14, 0x8000
	v_lshlrev_b64 v[4:5], 2, v[4:5]
	s_movk_i32 s16, 0x1000
	v_and_or_b32 v0, v1, s15, v0
	v_cmp_ne_u32_e32 vcc, 0, v0
	v_lshrrev_b32_e32 v6, 8, v1
	v_bfe_u32 v8, v1, 20, 11
	v_cndmask_b32_e64 v0, 0, 1, vcc
	v_and_or_b32 v0, v6, s10, v0
	v_sub_u32_e32 v9, 0x3f1, v8
	v_or_b32_e32 v6, 0x1000, v0
	v_med3_i32 v9, v9, 0, 13
	v_lshrrev_b32_e32 v10, v9, v6
	v_lshlrev_b32_e32 v9, v9, v10
	v_cmp_ne_u32_e32 vcc, v9, v6
	v_cndmask_b32_e64 v6, 0, 1, vcc
	v_add_u32_e32 v9, 0xfffffc10, v8
	v_or_b32_e32 v6, v10, v6
	v_lshl_or_b32 v8, v9, 12, v0
	v_cmp_gt_i32_e32 vcc, 1, v9
	v_cndmask_b32_e32 v6, v8, v6, vcc
	v_and_b32_e32 v8, 7, v6
	v_cmp_lt_i32_e32 vcc, 5, v8
	v_cmp_eq_u32_e64 s[2:3], 3, v8
	v_lshrrev_b32_e32 v6, 2, v6
	s_or_b64 vcc, s[2:3], vcc
	v_addc_co_u32_e32 v10, vcc, 0, v6, vcc
	v_cvt_f64_f32_e32 v[6:7], v2
	v_mov_b32_e32 v8, 0x7c00
	v_cmp_gt_i32_e32 vcc, 31, v9
	v_cndmask_b32_e32 v2, v8, v10, vcc
	v_mul_f64 v[6:7], v[6:7], s[12:13]
	v_cmp_ne_u32_e32 vcc, 0, v0
	v_cndmask_b32_e64 v0, 0, 1, vcc
	v_lshl_or_b32 v0, v0, 9, v8
	v_cmp_eq_u32_e32 vcc, s11, v9
	v_cndmask_b32_e32 v0, v2, v0, vcc
	v_lshrrev_b32_e32 v1, 16, v1
	v_and_or_b32 v11, v1, s14, v0
	v_and_or_b32 v0, v7, s15, v6
	v_cmp_ne_u32_e32 vcc, 0, v0
	v_cndmask_b32_e64 v0, 0, 1, vcc
	v_lshrrev_b32_e32 v1, 8, v7
	v_bfe_u32 v2, v7, 20, 11
	v_and_or_b32 v0, v1, s10, v0
	v_sub_u32_e32 v6, 0x3f1, v2
	v_or_b32_e32 v1, 0x1000, v0
	v_med3_i32 v6, v6, 0, 13
	v_lshrrev_b32_e32 v9, v6, v1
	v_lshlrev_b32_e32 v6, v6, v9
	v_cmp_ne_u32_e32 vcc, v6, v1
	v_cndmask_b32_e64 v1, 0, 1, vcc
	v_add_u32_e32 v2, 0xfffffc10, v2
	v_or_b32_e32 v1, v9, v1
	v_lshl_or_b32 v6, v2, 12, v0
	v_cmp_gt_i32_e32 vcc, 1, v2
	v_cndmask_b32_e32 v1, v6, v1, vcc
	v_and_b32_e32 v6, 7, v1
	v_cmp_lt_i32_e32 vcc, 5, v6
	v_cmp_eq_u32_e64 s[2:3], 3, v6
	v_lshrrev_b32_e32 v1, 2, v1
	s_or_b64 vcc, s[2:3], vcc
	v_addc_co_u32_e32 v1, vcc, 0, v1, vcc
	v_cmp_gt_i32_e32 vcc, 31, v2
	v_cndmask_b32_e32 v1, v8, v1, vcc
	v_cmp_ne_u32_e32 vcc, 0, v0
	v_cndmask_b32_e64 v0, 0, 1, vcc
	v_lshl_or_b32 v0, v0, 9, v8
	v_cmp_eq_u32_e32 vcc, s11, v2
	v_mad_u64_u32 v[9:10], s[2:3], s8, v82, 0
	v_cndmask_b32_e32 v12, v1, v0, vcc
	ds_read2_b32 v[0:1], v68 offset0:150 offset1:240
	v_mov_b32_e32 v2, v10
	v_lshrrev_b32_e32 v13, 16, v7
	v_mad_u64_u32 v[6:7], s[2:3], s9, v82, v[2:3]
	s_waitcnt lgkmcnt(0)
	v_lshrrev_b32_e32 v2, 16, v1
	v_mul_f16_sdwa v7, v83, v2 dst_sel:DWORD dst_unused:UNUSED_PAD src0_sel:WORD_1 src1_sel:DWORD
	v_fma_f16 v7, v83, v1, v7
	v_cvt_f32_f16_e32 v7, v7
	v_mov_b32_e32 v10, v6
	v_and_or_b32 v12, v13, s14, v12
	v_and_b32_e32 v11, 0xffff, v11
	v_cvt_f64_f32_e32 v[6:7], v7
	v_lshl_or_b32 v12, v12, 16, v11
	v_mov_b32_e32 v11, s7
	v_add_co_u32_e32 v13, vcc, s6, v4
	v_mul_f64 v[6:7], v[6:7], s[12:13]
	v_addc_co_u32_e32 v11, vcc, v11, v5, vcc
	v_lshlrev_b64 v[4:5], 2, v[9:10]
	v_mul_f16_sdwa v1, v83, v1 dst_sel:DWORD dst_unused:UNUSED_PAD src0_sel:WORD_1 src1_sel:DWORD
	v_add_co_u32_e32 v10, vcc, v13, v4
	v_addc_co_u32_e32 v11, vcc, v11, v5, vcc
	v_and_or_b32 v4, v7, s15, v6
	v_cmp_ne_u32_e32 vcc, 0, v4
	v_fma_f16 v1, v83, v2, -v1
	v_cndmask_b32_e64 v4, 0, 1, vcc
	v_lshrrev_b32_e32 v5, 8, v7
	v_bfe_u32 v6, v7, 20, 11
	v_cvt_f32_f16_e32 v1, v1
	v_and_or_b32 v4, v5, s10, v4
	v_sub_u32_e32 v9, 0x3f1, v6
	v_or_b32_e32 v5, 0x1000, v4
	v_med3_i32 v9, v9, 0, 13
	global_store_dword v[10:11], v12, off
	v_lshrrev_b32_e32 v12, v9, v5
	v_lshlrev_b32_e32 v9, v9, v12
	v_cvt_f64_f32_e32 v[1:2], v1
	v_cmp_ne_u32_e32 vcc, v9, v5
	v_cndmask_b32_e64 v5, 0, 1, vcc
	v_add_u32_e32 v6, 0xfffffc10, v6
	v_or_b32_e32 v5, v12, v5
	v_lshl_or_b32 v9, v6, 12, v4
	v_cmp_gt_i32_e32 vcc, 1, v6
	v_cndmask_b32_e32 v5, v9, v5, vcc
	v_mul_f64 v[1:2], v[1:2], s[12:13]
	v_and_b32_e32 v9, 7, v5
	v_cmp_lt_i32_e32 vcc, 5, v9
	v_cmp_eq_u32_e64 s[2:3], 3, v9
	v_lshrrev_b32_e32 v5, 2, v5
	s_or_b64 vcc, s[2:3], vcc
	v_addc_co_u32_e32 v5, vcc, 0, v5, vcc
	v_cmp_gt_i32_e32 vcc, 31, v6
	v_cndmask_b32_e32 v5, v8, v5, vcc
	v_cmp_ne_u32_e32 vcc, 0, v4
	v_cndmask_b32_e64 v4, 0, 1, vcc
	v_lshl_or_b32 v4, v4, 9, v8
	v_cmp_eq_u32_e32 vcc, s11, v6
	v_and_or_b32 v1, v2, s15, v1
	v_cndmask_b32_e32 v4, v5, v4, vcc
	v_lshrrev_b32_e32 v5, 16, v7
	v_cmp_ne_u32_e32 vcc, 0, v1
	v_and_or_b32 v6, v5, s14, v4
	v_cndmask_b32_e64 v1, 0, 1, vcc
	v_lshrrev_b32_e32 v4, 8, v2
	v_bfe_u32 v5, v2, 20, 11
	v_and_or_b32 v1, v4, s10, v1
	v_sub_u32_e32 v7, 0x3f1, v5
	v_or_b32_e32 v4, 0x1000, v1
	v_med3_i32 v7, v7, 0, 13
	v_lshrrev_b32_e32 v9, v7, v4
	v_lshlrev_b32_e32 v7, v7, v9
	v_cmp_ne_u32_e32 vcc, v7, v4
	v_cndmask_b32_e64 v4, 0, 1, vcc
	v_add_u32_e32 v7, 0xfffffc10, v5
	v_or_b32_e32 v4, v9, v4
	v_lshl_or_b32 v5, v7, 12, v1
	v_cmp_gt_i32_e32 vcc, 1, v7
	v_cndmask_b32_e32 v4, v5, v4, vcc
	v_and_b32_e32 v5, 7, v4
	v_cmp_lt_i32_e32 vcc, 5, v5
	v_cmp_eq_u32_e64 s[2:3], 3, v5
	v_lshrrev_b32_e32 v4, 2, v4
	s_or_b64 vcc, s[2:3], vcc
	v_addc_co_u32_e32 v4, vcc, 0, v4, vcc
	v_cmp_gt_i32_e32 vcc, 31, v7
	v_cndmask_b32_e32 v9, v8, v4, vcc
	v_add_u32_e32 v4, 0x600, v68
	ds_read2_b32 v[4:5], v4 offset0:96 offset1:171
	v_cmp_ne_u32_e32 vcc, 0, v1
	v_cndmask_b32_e64 v1, 0, 1, vcc
	v_lshl_or_b32 v1, v1, 9, v8
	v_cmp_eq_u32_e32 vcc, s11, v7
	v_cndmask_b32_e32 v1, v9, v1, vcc
	v_lshrrev_b32_e32 v2, 16, v2
	s_waitcnt lgkmcnt(0)
	v_lshrrev_b32_e32 v12, 16, v4
	v_and_or_b32 v7, v2, s14, v1
	v_mul_f16_sdwa v1, v81, v12 dst_sel:DWORD dst_unused:UNUSED_PAD src0_sel:WORD_1 src1_sel:DWORD
	v_fma_f16 v1, v81, v4, v1
	v_cvt_f32_f16_e32 v1, v1
	s_mul_i32 s2, s9, 0xf0
	s_mul_hi_u32 s3, s8, 0xf0
	s_add_i32 s3, s3, s2
	v_cvt_f64_f32_e32 v[1:2], v1
	s_mul_i32 s2, s8, 0xf0
	v_and_b32_e32 v6, 0xffff, v6
	s_lshl_b64 s[6:7], s[2:3], 2
	v_mul_f64 v[1:2], v[1:2], s[12:13]
	v_lshl_or_b32 v13, v7, 16, v6
	v_mov_b32_e32 v9, s7
	v_add_co_u32_e32 v6, vcc, s6, v10
	v_addc_co_u32_e32 v7, vcc, v11, v9, vcc
	global_store_dword v[6:7], v13, off
	v_and_or_b32 v1, v2, s15, v1
	v_cmp_ne_u32_e32 vcc, 0, v1
	v_cndmask_b32_e64 v1, 0, 1, vcc
	v_lshrrev_b32_e32 v10, 8, v2
	v_bfe_u32 v11, v2, 20, 11
	v_and_or_b32 v1, v10, s10, v1
	v_sub_u32_e32 v13, 0x3f1, v11
	v_or_b32_e32 v10, 0x1000, v1
	v_med3_i32 v13, v13, 0, 13
	v_lshrrev_b32_e32 v14, v13, v10
	v_lshlrev_b32_e32 v13, v13, v14
	v_mul_f16_sdwa v4, v81, v4 dst_sel:DWORD dst_unused:UNUSED_PAD src0_sel:WORD_1 src1_sel:DWORD
	v_cmp_ne_u32_e32 vcc, v13, v10
	v_fma_f16 v4, v81, v12, -v4
	v_cndmask_b32_e64 v10, 0, 1, vcc
	v_add_u32_e32 v13, 0xfffffc10, v11
	v_cvt_f32_f16_e32 v4, v4
	v_or_b32_e32 v10, v14, v10
	v_lshl_or_b32 v11, v13, 12, v1
	v_cmp_gt_i32_e32 vcc, 1, v13
	v_cndmask_b32_e32 v10, v11, v10, vcc
	v_and_b32_e32 v11, 7, v10
	v_cmp_lt_i32_e32 vcc, 5, v11
	v_cmp_eq_u32_e64 s[2:3], 3, v11
	v_lshrrev_b32_e32 v12, 2, v10
	v_cvt_f64_f32_e32 v[10:11], v4
	s_or_b64 vcc, s[2:3], vcc
	v_addc_co_u32_e32 v4, vcc, 0, v12, vcc
	v_mul_f64 v[10:11], v[10:11], s[12:13]
	v_cmp_gt_i32_e32 vcc, 31, v13
	v_cndmask_b32_e32 v4, v8, v4, vcc
	v_cmp_ne_u32_e32 vcc, 0, v1
	v_cndmask_b32_e64 v1, 0, 1, vcc
	v_lshl_or_b32 v1, v1, 9, v8
	v_cmp_eq_u32_e32 vcc, s11, v13
	v_cndmask_b32_e32 v1, v4, v1, vcc
	v_lshrrev_b32_e32 v2, 16, v2
	v_and_or_b32 v4, v2, s14, v1
	v_and_or_b32 v1, v11, s15, v10
	v_cmp_ne_u32_e32 vcc, 0, v1
	v_cndmask_b32_e64 v1, 0, 1, vcc
	v_lshrrev_b32_e32 v2, 8, v11
	v_and_or_b32 v10, v2, s10, v1
	v_bfe_u32 v2, v11, 20, 11
	v_sub_u32_e32 v12, 0x3f1, v2
	v_or_b32_e32 v1, 0x1000, v10
	v_med3_i32 v12, v12, 0, 13
	v_lshrrev_b32_e32 v13, v12, v1
	v_lshlrev_b32_e32 v12, v12, v13
	v_cmp_ne_u32_e32 vcc, v12, v1
	v_cndmask_b32_e64 v1, 0, 1, vcc
	v_add_u32_e32 v14, 0xfffffc10, v2
	v_or_b32_e32 v1, v13, v1
	v_lshl_or_b32 v2, v14, 12, v10
	v_cmp_gt_i32_e32 vcc, 1, v14
	v_cndmask_b32_e32 v1, v2, v1, vcc
	v_and_b32_e32 v2, 7, v1
	v_lshrrev_b32_e32 v12, 2, v1
	v_add_u32_e32 v1, 0x800, v68
	v_cmp_lt_i32_e32 vcc, 5, v2
	v_cmp_eq_u32_e64 s[2:3], 3, v2
	ds_read2_b32 v[1:2], v1 offset0:118 offset1:208
	s_or_b64 vcc, s[2:3], vcc
	v_addc_co_u32_e32 v12, vcc, 0, v12, vcc
	v_cmp_gt_i32_e32 vcc, 31, v14
	s_waitcnt lgkmcnt(0)
	v_lshrrev_b32_e32 v16, 16, v2
	v_cndmask_b32_e32 v15, v8, v12, vcc
	v_mul_f16_sdwa v12, v80, v16 dst_sel:DWORD dst_unused:UNUSED_PAD src0_sel:WORD_1 src1_sel:DWORD
	v_fma_f16 v12, v80, v2, v12
	v_cvt_f32_f16_e32 v12, v12
	v_cmp_ne_u32_e32 vcc, 0, v10
	v_cndmask_b32_e64 v10, 0, 1, vcc
	v_lshl_or_b32 v10, v10, 9, v8
	v_cvt_f64_f32_e32 v[12:13], v12
	v_cmp_eq_u32_e32 vcc, s11, v14
	v_cndmask_b32_e32 v10, v15, v10, vcc
	v_lshrrev_b32_e32 v11, 16, v11
	v_and_or_b32 v14, v11, s14, v10
	v_mul_f64 v[10:11], v[12:13], s[12:13]
	v_and_b32_e32 v4, 0xffff, v4
	v_add_co_u32_e32 v12, vcc, s6, v6
	v_lshl_or_b32 v4, v14, 16, v4
	v_addc_co_u32_e32 v13, vcc, v7, v9, vcc
	global_store_dword v[12:13], v4, off
	v_and_or_b32 v4, v11, s15, v10
	v_cmp_ne_u32_e32 vcc, 0, v4
	v_cndmask_b32_e64 v4, 0, 1, vcc
	v_lshrrev_b32_e32 v6, 8, v11
	v_bfe_u32 v7, v11, 20, 11
	v_and_or_b32 v4, v6, s10, v4
	v_sub_u32_e32 v10, 0x3f1, v7
	v_or_b32_e32 v6, 0x1000, v4
	v_med3_i32 v10, v10, 0, 13
	v_lshrrev_b32_e32 v14, v10, v6
	v_lshlrev_b32_e32 v10, v10, v14
	v_mul_f16_sdwa v2, v80, v2 dst_sel:DWORD dst_unused:UNUSED_PAD src0_sel:WORD_1 src1_sel:DWORD
	v_cmp_ne_u32_e32 vcc, v10, v6
	v_fma_f16 v2, v80, v16, -v2
	v_cndmask_b32_e64 v6, 0, 1, vcc
	v_add_u32_e32 v10, 0xfffffc10, v7
	v_cvt_f32_f16_e32 v2, v2
	v_or_b32_e32 v6, v14, v6
	v_lshl_or_b32 v7, v10, 12, v4
	v_cmp_gt_i32_e32 vcc, 1, v10
	v_cndmask_b32_e32 v6, v7, v6, vcc
	v_and_b32_e32 v7, 7, v6
	v_cmp_lt_i32_e32 vcc, 5, v7
	v_cmp_eq_u32_e64 s[2:3], 3, v7
	v_lshrrev_b32_e32 v14, 2, v6
	v_cvt_f64_f32_e32 v[6:7], v2
	s_or_b64 vcc, s[2:3], vcc
	v_addc_co_u32_e32 v2, vcc, 0, v14, vcc
	v_mul_f64 v[14:15], v[6:7], s[12:13]
	v_cmp_gt_i32_e32 vcc, 31, v10
	v_cndmask_b32_e32 v2, v8, v2, vcc
	v_cmp_ne_u32_e32 vcc, 0, v4
	v_cndmask_b32_e64 v4, 0, 1, vcc
	v_lshl_or_b32 v4, v4, 9, v8
	v_cmp_eq_u32_e32 vcc, s11, v10
	v_cndmask_b32_e32 v2, v2, v4, vcc
	v_lshrrev_b32_e32 v4, 16, v11
	v_and_or_b32 v2, v4, s14, v2
	v_and_or_b32 v4, v15, s15, v14
	v_cmp_ne_u32_e32 vcc, 0, v4
	v_cndmask_b32_e64 v4, 0, 1, vcc
	v_lshrrev_b32_e32 v6, 8, v15
	v_bfe_u32 v7, v15, 20, 11
	v_and_or_b32 v4, v6, s10, v4
	v_sub_u32_e32 v10, 0x3f1, v7
	v_or_b32_e32 v6, 0x1000, v4
	v_med3_i32 v10, v10, 0, 13
	v_lshrrev_b32_e32 v11, v10, v6
	v_lshlrev_b32_e32 v10, v10, v11
	v_cmp_ne_u32_e32 vcc, v10, v6
	v_cndmask_b32_e64 v6, 0, 1, vcc
	v_add_u32_e32 v14, 0xfffffc10, v7
	v_or_b32_e32 v6, v11, v6
	v_lshl_or_b32 v7, v14, 12, v4
	v_cmp_gt_i32_e32 vcc, 1, v14
	v_cndmask_b32_e32 v6, v7, v6, vcc
	v_and_b32_e32 v7, 7, v6
	v_lshrrev_b32_e32 v10, 2, v6
	v_add_u32_e32 v6, 0xe00, v68
	v_cmp_lt_i32_e32 vcc, 5, v7
	v_cmp_eq_u32_e64 s[2:3], 3, v7
	ds_read2_b32 v[6:7], v6 offset0:64 offset1:139
	s_or_b64 vcc, s[2:3], vcc
	v_addc_co_u32_e32 v10, vcc, 0, v10, vcc
	v_cmp_gt_i32_e32 vcc, 31, v14
	s_waitcnt lgkmcnt(0)
	v_lshrrev_b32_e32 v17, 16, v6
	v_cndmask_b32_e32 v16, v8, v10, vcc
	v_mul_f16_sdwa v10, v79, v17 dst_sel:DWORD dst_unused:UNUSED_PAD src0_sel:WORD_1 src1_sel:DWORD
	v_fma_f16 v10, v79, v6, v10
	v_cvt_f32_f16_e32 v10, v10
	v_cmp_ne_u32_e32 vcc, 0, v4
	v_cndmask_b32_e64 v4, 0, 1, vcc
	v_lshl_or_b32 v4, v4, 9, v8
	v_cvt_f64_f32_e32 v[10:11], v10
	v_cmp_eq_u32_e32 vcc, s11, v14
	v_cndmask_b32_e32 v4, v16, v4, vcc
	v_lshrrev_b32_e32 v14, 16, v15
	v_mul_f64 v[10:11], v[10:11], s[12:13]
	v_and_or_b32 v4, v14, s14, v4
	v_and_b32_e32 v2, 0xffff, v2
	v_add_co_u32_e32 v12, vcc, s6, v12
	v_lshl_or_b32 v2, v4, 16, v2
	v_addc_co_u32_e32 v13, vcc, v13, v9, vcc
	global_store_dword v[12:13], v2, off
	v_and_or_b32 v2, v11, s15, v10
	v_cmp_ne_u32_e32 vcc, 0, v2
	v_cndmask_b32_e64 v2, 0, 1, vcc
	v_lshrrev_b32_e32 v4, 8, v11
	v_bfe_u32 v10, v11, 20, 11
	v_and_or_b32 v2, v4, s10, v2
	v_sub_u32_e32 v14, 0x3f1, v10
	v_or_b32_e32 v4, 0x1000, v2
	v_med3_i32 v14, v14, 0, 13
	v_lshrrev_b32_e32 v15, v14, v4
	v_lshlrev_b32_e32 v14, v14, v15
	v_mul_f16_sdwa v6, v79, v6 dst_sel:DWORD dst_unused:UNUSED_PAD src0_sel:WORD_1 src1_sel:DWORD
	v_cmp_ne_u32_e32 vcc, v14, v4
	v_fma_f16 v6, v79, v17, -v6
	v_cndmask_b32_e64 v4, 0, 1, vcc
	v_add_u32_e32 v10, 0xfffffc10, v10
	v_cvt_f32_f16_e32 v6, v6
	v_or_b32_e32 v4, v15, v4
	v_lshl_or_b32 v14, v10, 12, v2
	v_cmp_gt_i32_e32 vcc, 1, v10
	v_cndmask_b32_e32 v4, v14, v4, vcc
	v_and_b32_e32 v14, 7, v4
	v_cmp_lt_i32_e32 vcc, 5, v14
	v_cmp_eq_u32_e64 s[2:3], 3, v14
	v_cvt_f64_f32_e32 v[14:15], v6
	v_lshrrev_b32_e32 v4, 2, v4
	s_or_b64 vcc, s[2:3], vcc
	v_addc_co_u32_e32 v4, vcc, 0, v4, vcc
	v_mul_f64 v[14:15], v[14:15], s[12:13]
	v_cmp_gt_i32_e32 vcc, 31, v10
	v_cndmask_b32_e32 v4, v8, v4, vcc
	v_cmp_ne_u32_e32 vcc, 0, v2
	v_cndmask_b32_e64 v2, 0, 1, vcc
	v_lshl_or_b32 v2, v2, 9, v8
	v_cmp_eq_u32_e32 vcc, s11, v10
	v_cndmask_b32_e32 v2, v4, v2, vcc
	v_lshrrev_b32_e32 v4, 16, v11
	v_and_or_b32 v2, v4, s14, v2
	v_and_or_b32 v4, v15, s15, v14
	v_cmp_ne_u32_e32 vcc, 0, v4
	v_cndmask_b32_e64 v4, 0, 1, vcc
	v_lshrrev_b32_e32 v6, 8, v15
	v_bfe_u32 v10, v15, 20, 11
	v_and_or_b32 v4, v6, s10, v4
	v_sub_u32_e32 v11, 0x3f1, v10
	v_or_b32_e32 v6, 0x1000, v4
	v_med3_i32 v11, v11, 0, 13
	v_lshrrev_b32_e32 v14, v11, v6
	v_lshlrev_b32_e32 v11, v11, v14
	v_cmp_ne_u32_e32 vcc, v11, v6
	v_cndmask_b32_e64 v6, 0, 1, vcc
	v_or_b32_e32 v6, v14, v6
	v_add_u32_e32 v14, 0xfffffc10, v10
	v_lshl_or_b32 v10, v14, 12, v4
	v_cmp_gt_i32_e32 vcc, 1, v14
	v_cndmask_b32_e32 v6, v10, v6, vcc
	v_and_b32_e32 v10, 7, v6
	v_lshrrev_b32_e32 v16, 16, v3
	v_cmp_lt_i32_e32 vcc, 5, v10
	v_cmp_eq_u32_e64 s[2:3], 3, v10
	v_mul_f16_sdwa v10, v78, v16 dst_sel:DWORD dst_unused:UNUSED_PAD src0_sel:WORD_1 src1_sel:DWORD
	v_fma_f16 v10, v78, v3, v10
	v_cvt_f32_f16_e32 v10, v10
	v_lshrrev_b32_e32 v6, 2, v6
	s_or_b64 vcc, s[2:3], vcc
	v_addc_co_u32_e32 v6, vcc, 0, v6, vcc
	v_cvt_f64_f32_e32 v[10:11], v10
	v_cmp_gt_i32_e32 vcc, 31, v14
	v_cndmask_b32_e32 v6, v8, v6, vcc
	v_cmp_ne_u32_e32 vcc, 0, v4
	v_mul_f64 v[10:11], v[10:11], s[12:13]
	v_cndmask_b32_e64 v4, 0, 1, vcc
	v_lshl_or_b32 v4, v4, 9, v8
	v_cmp_eq_u32_e32 vcc, s11, v14
	v_cndmask_b32_e32 v4, v6, v4, vcc
	v_lshrrev_b32_e32 v6, 16, v15
	v_and_or_b32 v4, v6, s14, v4
	v_and_b32_e32 v2, 0xffff, v2
	v_add_co_u32_e32 v12, vcc, s6, v12
	v_lshl_or_b32 v2, v4, 16, v2
	v_addc_co_u32_e32 v13, vcc, v13, v9, vcc
	global_store_dword v[12:13], v2, off
	v_and_or_b32 v2, v11, s15, v10
	v_cmp_ne_u32_e32 vcc, 0, v2
	v_cndmask_b32_e64 v2, 0, 1, vcc
	v_lshrrev_b32_e32 v4, 8, v11
	v_and_or_b32 v6, v4, s10, v2
	v_bfe_u32 v4, v11, 20, 11
	v_sub_u32_e32 v10, 0x3f1, v4
	v_or_b32_e32 v2, 0x1000, v6
	v_med3_i32 v10, v10, 0, 13
	v_lshrrev_b32_e32 v14, v10, v2
	v_lshlrev_b32_e32 v10, v10, v14
	v_mul_f16_sdwa v3, v78, v3 dst_sel:DWORD dst_unused:UNUSED_PAD src0_sel:WORD_1 src1_sel:DWORD
	v_cmp_ne_u32_e32 vcc, v10, v2
	v_fma_f16 v3, v78, v16, -v3
	v_cndmask_b32_e64 v2, 0, 1, vcc
	v_add_u32_e32 v10, 0xfffffc10, v4
	v_cvt_f32_f16_e32 v3, v3
	v_or_b32_e32 v2, v14, v2
	v_lshl_or_b32 v4, v10, 12, v6
	v_cmp_gt_i32_e32 vcc, 1, v10
	v_cndmask_b32_e32 v2, v4, v2, vcc
	v_and_b32_e32 v4, 7, v2
	v_cmp_lt_i32_e32 vcc, 5, v4
	v_cmp_eq_u32_e64 s[2:3], 3, v4
	v_lshrrev_b32_e32 v4, 2, v2
	v_cvt_f64_f32_e32 v[2:3], v3
	s_or_b64 vcc, s[2:3], vcc
	v_addc_co_u32_e32 v4, vcc, 0, v4, vcc
	v_cmp_gt_i32_e32 vcc, 31, v10
	v_cndmask_b32_e32 v14, v8, v4, vcc
	v_mul_f64 v[3:4], v[2:3], s[12:13]
	v_cmp_ne_u32_e32 vcc, 0, v6
	v_cndmask_b32_e64 v2, 0, 1, vcc
	v_lshl_or_b32 v2, v2, 9, v8
	v_cmp_eq_u32_e32 vcc, s11, v10
	v_cndmask_b32_e32 v2, v14, v2, vcc
	v_lshrrev_b32_e32 v6, 16, v11
	v_and_or_b32 v6, v6, s14, v2
	v_and_or_b32 v2, v4, s15, v3
	v_cmp_ne_u32_e32 vcc, 0, v2
	v_cndmask_b32_e64 v2, 0, 1, vcc
	v_lshrrev_b32_e32 v3, 8, v4
	v_bfe_u32 v10, v4, 20, 11
	v_and_or_b32 v2, v3, s10, v2
	v_sub_u32_e32 v11, 0x3f1, v10
	v_or_b32_e32 v3, 0x1000, v2
	v_med3_i32 v11, v11, 0, 13
	v_lshrrev_b32_e32 v14, v11, v3
	v_lshlrev_b32_e32 v11, v11, v14
	v_cmp_ne_u32_e32 vcc, v11, v3
	v_cndmask_b32_e64 v3, 0, 1, vcc
	v_add_u32_e32 v10, 0xfffffc10, v10
	v_or_b32_e32 v3, v14, v3
	v_lshl_or_b32 v11, v10, 12, v2
	v_cmp_gt_i32_e32 vcc, 1, v10
	v_cndmask_b32_e32 v3, v11, v3, vcc
	v_and_b32_e32 v11, 7, v3
	v_cmp_lt_i32_e32 vcc, 5, v11
	v_cmp_eq_u32_e64 s[2:3], 3, v11
	v_lshrrev_b32_e32 v3, 2, v3
	s_or_b64 vcc, s[2:3], vcc
	v_addc_co_u32_e32 v3, vcc, 0, v3, vcc
	v_cmp_gt_i32_e32 vcc, 31, v10
	v_cndmask_b32_e32 v11, v8, v3, vcc
	v_cmp_ne_u32_e32 vcc, 0, v2
	v_cndmask_b32_e64 v2, 0, 1, vcc
	v_lshl_or_b32 v14, v2, 9, v8
	v_add_u32_e32 v2, 0x400, v68
	ds_read2_b32 v[2:3], v2 offset0:59 offset1:134
	v_cmp_eq_u32_e32 vcc, s11, v10
	v_cndmask_b32_e32 v10, v11, v14, vcc
	v_lshrrev_b32_e32 v4, 16, v4
	v_and_or_b32 v4, v4, s14, v10
	s_waitcnt lgkmcnt(0)
	v_lshrrev_b32_e32 v14, 16, v2
	v_mul_f16_sdwa v10, v77, v14 dst_sel:DWORD dst_unused:UNUSED_PAD src0_sel:WORD_1 src1_sel:DWORD
	v_fma_f16 v10, v77, v2, v10
	v_cvt_f32_f16_e32 v10, v10
	s_mul_hi_u32 s3, s8, 0xfffffc8b
	s_mul_i32 s2, s9, 0xfffffc8b
	s_sub_i32 s3, s3, s8
	v_cvt_f64_f32_e32 v[10:11], v10
	s_add_i32 s3, s3, s2
	s_mul_i32 s2, s8, 0xfffffc8b
	v_and_b32_e32 v6, 0xffff, v6
	v_mul_f64 v[10:11], v[10:11], s[12:13]
	s_lshl_b64 s[4:5], s[2:3], 2
	v_lshl_or_b32 v4, v4, 16, v6
	v_mov_b32_e32 v6, s5
	v_add_co_u32_e32 v12, vcc, s4, v12
	v_addc_co_u32_e32 v13, vcc, v13, v6, vcc
	global_store_dword v[12:13], v4, off
	v_and_or_b32 v4, v11, s15, v10
	v_cmp_ne_u32_e32 vcc, 0, v4
	v_cndmask_b32_e64 v4, 0, 1, vcc
	v_lshrrev_b32_e32 v10, 8, v11
	v_bfe_u32 v15, v11, 20, 11
	v_and_or_b32 v4, v10, s10, v4
	v_sub_u32_e32 v16, 0x3f1, v15
	v_or_b32_e32 v10, 0x1000, v4
	v_med3_i32 v16, v16, 0, 13
	v_lshrrev_b32_e32 v17, v16, v10
	v_lshlrev_b32_e32 v16, v16, v17
	v_mul_f16_sdwa v2, v77, v2 dst_sel:DWORD dst_unused:UNUSED_PAD src0_sel:WORD_1 src1_sel:DWORD
	v_cmp_ne_u32_e32 vcc, v16, v10
	v_fma_f16 v2, v77, v14, -v2
	v_cndmask_b32_e64 v10, 0, 1, vcc
	v_add_u32_e32 v16, 0xfffffc10, v15
	v_cvt_f32_f16_e32 v2, v2
	v_or_b32_e32 v10, v17, v10
	v_lshl_or_b32 v15, v16, 12, v4
	v_cmp_gt_i32_e32 vcc, 1, v16
	v_cndmask_b32_e32 v10, v15, v10, vcc
	v_and_b32_e32 v15, 7, v10
	v_cmp_lt_i32_e32 vcc, 5, v15
	v_cmp_eq_u32_e64 s[2:3], 3, v15
	v_cvt_f64_f32_e32 v[14:15], v2
	v_lshrrev_b32_e32 v10, 2, v10
	s_or_b64 vcc, s[2:3], vcc
	v_addc_co_u32_e32 v2, vcc, 0, v10, vcc
	v_mul_f64 v[14:15], v[14:15], s[12:13]
	v_cmp_gt_i32_e32 vcc, 31, v16
	v_cndmask_b32_e32 v2, v8, v2, vcc
	v_cmp_ne_u32_e32 vcc, 0, v4
	v_cndmask_b32_e64 v4, 0, 1, vcc
	v_lshl_or_b32 v4, v4, 9, v8
	v_cmp_eq_u32_e32 vcc, s11, v16
	v_cndmask_b32_e32 v2, v2, v4, vcc
	v_lshrrev_b32_e32 v4, 16, v11
	v_and_or_b32 v2, v4, s14, v2
	v_and_or_b32 v4, v15, s15, v14
	v_cmp_ne_u32_e32 vcc, 0, v4
	v_cndmask_b32_e64 v4, 0, 1, vcc
	v_lshrrev_b32_e32 v10, 8, v15
	v_bfe_u32 v11, v15, 20, 11
	v_and_or_b32 v4, v10, s10, v4
	v_sub_u32_e32 v14, 0x3f1, v11
	v_or_b32_e32 v10, 0x1000, v4
	v_med3_i32 v14, v14, 0, 13
	v_lshrrev_b32_e32 v16, v14, v10
	v_lshlrev_b32_e32 v14, v14, v16
	v_cmp_ne_u32_e32 vcc, v14, v10
	v_cndmask_b32_e64 v10, 0, 1, vcc
	v_add_u32_e32 v14, 0xfffffc10, v11
	v_or_b32_e32 v10, v16, v10
	v_lshl_or_b32 v11, v14, 12, v4
	v_cmp_gt_i32_e32 vcc, 1, v14
	v_cndmask_b32_e32 v10, v11, v10, vcc
	v_and_b32_e32 v11, 7, v10
	v_cmp_lt_i32_e32 vcc, 5, v11
	v_cmp_eq_u32_e64 s[2:3], 3, v11
	v_lshrrev_b32_e32 v10, 2, v10
	s_or_b64 vcc, s[2:3], vcc
	v_addc_co_u32_e32 v10, vcc, 0, v10, vcc
	v_cmp_gt_i32_e32 vcc, 31, v14
	v_lshrrev_b32_e32 v17, 16, v5
	v_cndmask_b32_e32 v16, v8, v10, vcc
	v_mul_f16_sdwa v10, v76, v17 dst_sel:DWORD dst_unused:UNUSED_PAD src0_sel:WORD_1 src1_sel:DWORD
	v_fma_f16 v10, v76, v5, v10
	v_cvt_f32_f16_e32 v10, v10
	v_cmp_ne_u32_e32 vcc, 0, v4
	v_cndmask_b32_e64 v4, 0, 1, vcc
	v_lshl_or_b32 v4, v4, 9, v8
	v_cvt_f64_f32_e32 v[10:11], v10
	v_cmp_eq_u32_e32 vcc, s11, v14
	v_cndmask_b32_e32 v4, v16, v4, vcc
	v_lshrrev_b32_e32 v14, 16, v15
	v_mul_f64 v[10:11], v[10:11], s[12:13]
	v_and_or_b32 v4, v14, s14, v4
	v_and_b32_e32 v2, 0xffff, v2
	v_add_co_u32_e32 v12, vcc, s6, v12
	v_lshl_or_b32 v2, v4, 16, v2
	v_addc_co_u32_e32 v13, vcc, v13, v9, vcc
	global_store_dword v[12:13], v2, off
	v_and_or_b32 v2, v11, s15, v10
	v_cmp_ne_u32_e32 vcc, 0, v2
	v_cndmask_b32_e64 v2, 0, 1, vcc
	v_lshrrev_b32_e32 v4, 8, v11
	v_bfe_u32 v10, v11, 20, 11
	v_and_or_b32 v2, v4, s10, v2
	v_sub_u32_e32 v14, 0x3f1, v10
	v_or_b32_e32 v4, 0x1000, v2
	v_med3_i32 v14, v14, 0, 13
	v_lshrrev_b32_e32 v15, v14, v4
	v_lshlrev_b32_e32 v14, v14, v15
	v_mul_f16_sdwa v5, v76, v5 dst_sel:DWORD dst_unused:UNUSED_PAD src0_sel:WORD_1 src1_sel:DWORD
	v_cmp_ne_u32_e32 vcc, v14, v4
	v_fma_f16 v5, v76, v17, -v5
	v_cndmask_b32_e64 v4, 0, 1, vcc
	v_add_u32_e32 v10, 0xfffffc10, v10
	v_cvt_f32_f16_e32 v5, v5
	v_or_b32_e32 v4, v15, v4
	v_lshl_or_b32 v14, v10, 12, v2
	v_cmp_gt_i32_e32 vcc, 1, v10
	v_cndmask_b32_e32 v4, v14, v4, vcc
	v_and_b32_e32 v14, 7, v4
	v_cmp_lt_i32_e32 vcc, 5, v14
	v_cmp_eq_u32_e64 s[2:3], 3, v14
	v_lshrrev_b32_e32 v14, 2, v4
	v_cvt_f64_f32_e32 v[4:5], v5
	s_or_b64 vcc, s[2:3], vcc
	v_addc_co_u32_e32 v14, vcc, 0, v14, vcc
	v_cmp_gt_i32_e32 vcc, 31, v10
	v_cndmask_b32_e32 v16, v8, v14, vcc
	v_mul_f64 v[14:15], v[4:5], s[12:13]
	v_cmp_ne_u32_e32 vcc, 0, v2
	v_cndmask_b32_e64 v2, 0, 1, vcc
	v_lshl_or_b32 v2, v2, 9, v8
	v_cmp_eq_u32_e32 vcc, s11, v10
	v_cndmask_b32_e32 v2, v16, v2, vcc
	v_lshrrev_b32_e32 v4, 16, v11
	v_and_or_b32 v2, v4, s14, v2
	v_and_or_b32 v4, v15, s15, v14
	v_cmp_ne_u32_e32 vcc, 0, v4
	v_cndmask_b32_e64 v4, 0, 1, vcc
	v_lshrrev_b32_e32 v5, 8, v15
	v_and_or_b32 v10, v5, s10, v4
	v_bfe_u32 v5, v15, 20, 11
	v_sub_u32_e32 v11, 0x3f1, v5
	v_or_b32_e32 v4, 0x1000, v10
	v_med3_i32 v11, v11, 0, 13
	v_lshrrev_b32_e32 v14, v11, v4
	v_lshlrev_b32_e32 v11, v11, v14
	v_cmp_ne_u32_e32 vcc, v11, v4
	v_cndmask_b32_e64 v4, 0, 1, vcc
	v_or_b32_e32 v4, v14, v4
	v_add_u32_e32 v14, 0xfffffc10, v5
	v_lshl_or_b32 v5, v14, 12, v10
	v_cmp_gt_i32_e32 vcc, 1, v14
	v_cndmask_b32_e32 v4, v5, v4, vcc
	v_and_b32_e32 v5, 7, v4
	v_lshrrev_b32_e32 v11, 2, v4
	v_add_u32_e32 v4, 0xc00, v68
	v_cmp_lt_i32_e32 vcc, 5, v5
	v_cmp_eq_u32_e64 s[2:3], 3, v5
	ds_read2_b32 v[4:5], v4 offset0:27 offset1:102
	s_or_b64 vcc, s[2:3], vcc
	v_addc_co_u32_e32 v11, vcc, 0, v11, vcc
	v_cmp_gt_i32_e32 vcc, 31, v14
	s_waitcnt lgkmcnt(0)
	v_lshrrev_b32_e32 v17, 16, v4
	v_cndmask_b32_e32 v16, v8, v11, vcc
	v_mul_f16_sdwa v11, v75, v17 dst_sel:DWORD dst_unused:UNUSED_PAD src0_sel:WORD_1 src1_sel:DWORD
	v_fma_f16 v11, v75, v4, v11
	v_cvt_f32_f16_e32 v11, v11
	v_cmp_ne_u32_e32 vcc, 0, v10
	v_cndmask_b32_e64 v10, 0, 1, vcc
	v_lshl_or_b32 v18, v10, 9, v8
	v_cvt_f64_f32_e32 v[10:11], v11
	v_cmp_eq_u32_e32 vcc, s11, v14
	v_cndmask_b32_e32 v14, v16, v18, vcc
	v_lshrrev_b32_e32 v15, 16, v15
	v_mul_f64 v[10:11], v[10:11], s[12:13]
	v_and_or_b32 v14, v15, s14, v14
	v_and_b32_e32 v2, 0xffff, v2
	v_add_co_u32_e32 v12, vcc, s6, v12
	v_lshl_or_b32 v2, v14, 16, v2
	v_addc_co_u32_e32 v13, vcc, v13, v9, vcc
	global_store_dword v[12:13], v2, off
	v_and_or_b32 v2, v11, s15, v10
	v_cmp_ne_u32_e32 vcc, 0, v2
	v_cndmask_b32_e64 v2, 0, 1, vcc
	v_lshrrev_b32_e32 v10, 8, v11
	v_bfe_u32 v14, v11, 20, 11
	v_and_or_b32 v2, v10, s10, v2
	v_sub_u32_e32 v15, 0x3f1, v14
	v_or_b32_e32 v10, 0x1000, v2
	v_med3_i32 v15, v15, 0, 13
	v_lshrrev_b32_e32 v16, v15, v10
	v_lshlrev_b32_e32 v15, v15, v16
	v_cmp_ne_u32_e32 vcc, v15, v10
	v_mul_f16_sdwa v4, v75, v4 dst_sel:DWORD dst_unused:UNUSED_PAD src0_sel:WORD_1 src1_sel:DWORD
	v_cndmask_b32_e64 v10, 0, 1, vcc
	v_fma_f16 v4, v75, v17, -v4
	v_or_b32_e32 v10, v16, v10
	v_add_u32_e32 v16, 0xfffffc10, v14
	v_cvt_f32_f16_e32 v4, v4
	v_lshl_or_b32 v14, v16, 12, v2
	v_cmp_gt_i32_e32 vcc, 1, v16
	v_cndmask_b32_e32 v10, v14, v10, vcc
	v_and_b32_e32 v14, 7, v10
	v_cmp_lt_i32_e32 vcc, 5, v14
	v_cmp_eq_u32_e64 s[2:3], 3, v14
	v_cvt_f64_f32_e32 v[14:15], v4
	v_lshrrev_b32_e32 v10, 2, v10
	s_or_b64 vcc, s[2:3], vcc
	v_addc_co_u32_e32 v4, vcc, 0, v10, vcc
	v_mul_f64 v[14:15], v[14:15], s[12:13]
	v_cmp_gt_i32_e32 vcc, 31, v16
	v_cndmask_b32_e32 v4, v8, v4, vcc
	v_cmp_ne_u32_e32 vcc, 0, v2
	v_cndmask_b32_e64 v2, 0, 1, vcc
	v_lshl_or_b32 v2, v2, 9, v8
	v_cmp_eq_u32_e32 vcc, s11, v16
	v_cndmask_b32_e32 v2, v4, v2, vcc
	v_lshrrev_b32_e32 v4, 16, v11
	v_and_or_b32 v2, v4, s14, v2
	v_and_or_b32 v4, v15, s15, v14
	v_cmp_ne_u32_e32 vcc, 0, v4
	v_cndmask_b32_e64 v4, 0, 1, vcc
	v_lshrrev_b32_e32 v10, 8, v15
	v_bfe_u32 v11, v15, 20, 11
	v_and_or_b32 v4, v10, s10, v4
	v_sub_u32_e32 v14, 0x3f1, v11
	v_or_b32_e32 v10, 0x1000, v4
	v_med3_i32 v14, v14, 0, 13
	v_lshrrev_b32_e32 v16, v14, v10
	v_lshlrev_b32_e32 v14, v14, v16
	v_cmp_ne_u32_e32 vcc, v14, v10
	v_cndmask_b32_e64 v10, 0, 1, vcc
	v_add_u32_e32 v14, 0xfffffc10, v11
	v_or_b32_e32 v10, v16, v10
	v_lshl_or_b32 v11, v14, 12, v4
	v_cmp_gt_i32_e32 vcc, 1, v14
	v_cndmask_b32_e32 v10, v11, v10, vcc
	v_and_b32_e32 v11, 7, v10
	v_cmp_lt_i32_e32 vcc, 5, v11
	v_cmp_eq_u32_e64 s[2:3], 3, v11
	v_lshrrev_b32_e32 v10, 2, v10
	s_or_b64 vcc, s[2:3], vcc
	v_addc_co_u32_e32 v10, vcc, 0, v10, vcc
	v_cmp_gt_i32_e32 vcc, 31, v14
	v_lshrrev_b32_e32 v17, 16, v7
	v_cndmask_b32_e32 v16, v8, v10, vcc
	v_mul_f16_sdwa v10, v74, v17 dst_sel:DWORD dst_unused:UNUSED_PAD src0_sel:WORD_1 src1_sel:DWORD
	v_fma_f16 v10, v74, v7, v10
	v_cvt_f32_f16_e32 v10, v10
	v_cmp_ne_u32_e32 vcc, 0, v4
	v_cndmask_b32_e64 v4, 0, 1, vcc
	v_lshl_or_b32 v4, v4, 9, v8
	v_cvt_f64_f32_e32 v[10:11], v10
	v_cmp_eq_u32_e32 vcc, s11, v14
	v_cndmask_b32_e32 v4, v16, v4, vcc
	v_lshrrev_b32_e32 v14, 16, v15
	v_mul_f64 v[10:11], v[10:11], s[12:13]
	v_and_or_b32 v4, v14, s14, v4
	v_and_b32_e32 v2, 0xffff, v2
	v_add_co_u32_e32 v12, vcc, s6, v12
	v_lshl_or_b32 v2, v4, 16, v2
	v_addc_co_u32_e32 v13, vcc, v13, v9, vcc
	global_store_dword v[12:13], v2, off
	v_and_or_b32 v2, v11, s15, v10
	v_cmp_ne_u32_e32 vcc, 0, v2
	v_cndmask_b32_e64 v2, 0, 1, vcc
	v_lshrrev_b32_e32 v4, 8, v11
	v_bfe_u32 v10, v11, 20, 11
	v_and_or_b32 v2, v4, s10, v2
	v_sub_u32_e32 v14, 0x3f1, v10
	v_or_b32_e32 v4, 0x1000, v2
	v_med3_i32 v14, v14, 0, 13
	v_lshrrev_b32_e32 v15, v14, v4
	v_lshlrev_b32_e32 v14, v14, v15
	v_mul_f16_sdwa v7, v74, v7 dst_sel:DWORD dst_unused:UNUSED_PAD src0_sel:WORD_1 src1_sel:DWORD
	v_cmp_ne_u32_e32 vcc, v14, v4
	v_fma_f16 v7, v74, v17, -v7
	v_cndmask_b32_e64 v4, 0, 1, vcc
	v_add_u32_e32 v10, 0xfffffc10, v10
	v_cvt_f32_f16_e32 v7, v7
	v_or_b32_e32 v4, v15, v4
	v_lshl_or_b32 v14, v10, 12, v2
	v_cmp_gt_i32_e32 vcc, 1, v10
	v_cndmask_b32_e32 v4, v14, v4, vcc
	v_and_b32_e32 v14, 7, v4
	v_cmp_lt_i32_e32 vcc, 5, v14
	v_cmp_eq_u32_e64 s[2:3], 3, v14
	v_cvt_f64_f32_e32 v[14:15], v7
	v_lshrrev_b32_e32 v4, 2, v4
	s_or_b64 vcc, s[2:3], vcc
	v_addc_co_u32_e32 v4, vcc, 0, v4, vcc
	v_mul_f64 v[14:15], v[14:15], s[12:13]
	v_cmp_gt_i32_e32 vcc, 31, v10
	v_cndmask_b32_e32 v4, v8, v4, vcc
	v_cmp_ne_u32_e32 vcc, 0, v2
	v_cndmask_b32_e64 v2, 0, 1, vcc
	v_lshl_or_b32 v2, v2, 9, v8
	v_cmp_eq_u32_e32 vcc, s11, v10
	v_cndmask_b32_e32 v2, v4, v2, vcc
	v_lshrrev_b32_e32 v4, 16, v11
	v_and_or_b32 v2, v4, s14, v2
	v_and_or_b32 v4, v15, s15, v14
	v_cmp_ne_u32_e32 vcc, 0, v4
	v_cndmask_b32_e64 v4, 0, 1, vcc
	v_lshrrev_b32_e32 v7, 8, v15
	v_bfe_u32 v10, v15, 20, 11
	v_and_or_b32 v4, v7, s10, v4
	v_sub_u32_e32 v11, 0x3f1, v10
	v_or_b32_e32 v7, 0x1000, v4
	v_med3_i32 v11, v11, 0, 13
	v_lshrrev_b32_e32 v14, v11, v7
	v_lshlrev_b32_e32 v11, v11, v14
	v_cmp_ne_u32_e32 vcc, v11, v7
	v_cndmask_b32_e64 v7, 0, 1, vcc
	v_or_b32_e32 v7, v14, v7
	v_add_u32_e32 v14, 0xfffffc10, v10
	v_lshl_or_b32 v10, v14, 12, v4
	v_cmp_gt_i32_e32 vcc, 1, v14
	v_cndmask_b32_e32 v7, v10, v7, vcc
	v_and_b32_e32 v10, 7, v7
	v_lshrrev_b32_e32 v16, 16, v0
	v_cmp_lt_i32_e32 vcc, 5, v10
	v_cmp_eq_u32_e64 s[2:3], 3, v10
	v_mul_f16_sdwa v10, v73, v16 dst_sel:DWORD dst_unused:UNUSED_PAD src0_sel:WORD_1 src1_sel:DWORD
	v_fma_f16 v10, v73, v0, v10
	v_cvt_f32_f16_e32 v10, v10
	v_lshrrev_b32_e32 v7, 2, v7
	s_or_b64 vcc, s[2:3], vcc
	v_addc_co_u32_e32 v7, vcc, 0, v7, vcc
	v_cvt_f64_f32_e32 v[10:11], v10
	v_cmp_gt_i32_e32 vcc, 31, v14
	v_cndmask_b32_e32 v7, v8, v7, vcc
	v_cmp_ne_u32_e32 vcc, 0, v4
	v_mul_f64 v[10:11], v[10:11], s[12:13]
	v_cndmask_b32_e64 v4, 0, 1, vcc
	v_lshl_or_b32 v4, v4, 9, v8
	v_cmp_eq_u32_e32 vcc, s11, v14
	v_cndmask_b32_e32 v4, v7, v4, vcc
	v_lshrrev_b32_e32 v7, 16, v15
	v_and_or_b32 v4, v7, s14, v4
	v_and_b32_e32 v2, 0xffff, v2
	v_add_co_u32_e32 v12, vcc, s6, v12
	v_lshl_or_b32 v2, v4, 16, v2
	v_addc_co_u32_e32 v13, vcc, v13, v9, vcc
	global_store_dword v[12:13], v2, off
	v_and_or_b32 v2, v11, s15, v10
	v_cmp_ne_u32_e32 vcc, 0, v2
	v_cndmask_b32_e64 v2, 0, 1, vcc
	v_lshrrev_b32_e32 v4, 8, v11
	v_bfe_u32 v7, v11, 20, 11
	v_and_or_b32 v2, v4, s10, v2
	v_sub_u32_e32 v10, 0x3f1, v7
	v_mul_f16_sdwa v0, v73, v0 dst_sel:DWORD dst_unused:UNUSED_PAD src0_sel:WORD_1 src1_sel:DWORD
	v_or_b32_e32 v4, 0x1000, v2
	v_med3_i32 v10, v10, 0, 13
	v_fma_f16 v0, v73, v16, -v0
	v_lshrrev_b32_e32 v14, v10, v4
	v_cvt_f32_f16_e32 v0, v0
	v_lshlrev_b32_e32 v10, v10, v14
	v_cmp_ne_u32_e32 vcc, v10, v4
	v_cndmask_b32_e64 v4, 0, 1, vcc
	v_or_b32_e32 v4, v14, v4
	v_add_u32_e32 v7, 0xfffffc10, v7
	v_cvt_f64_f32_e32 v[14:15], v0
	v_lshl_or_b32 v10, v7, 12, v2
	v_cmp_gt_i32_e32 vcc, 1, v7
	v_cndmask_b32_e32 v4, v10, v4, vcc
	v_and_b32_e32 v10, 7, v4
	v_cmp_lt_i32_e32 vcc, 5, v10
	v_cmp_eq_u32_e64 s[2:3], 3, v10
	v_mul_f64 v[14:15], v[14:15], s[12:13]
	v_lshrrev_b32_e32 v4, 2, v4
	s_or_b64 vcc, s[2:3], vcc
	v_addc_co_u32_e32 v0, vcc, 0, v4, vcc
	v_cmp_gt_i32_e32 vcc, 31, v7
	v_cndmask_b32_e32 v0, v8, v0, vcc
	v_cmp_ne_u32_e32 vcc, 0, v2
	v_cndmask_b32_e64 v2, 0, 1, vcc
	v_lshl_or_b32 v2, v2, 9, v8
	v_cmp_eq_u32_e32 vcc, s11, v7
	v_cndmask_b32_e32 v0, v0, v2, vcc
	v_lshrrev_b32_e32 v2, 16, v11
	v_and_or_b32 v0, v2, s14, v0
	v_and_or_b32 v2, v15, s15, v14
	v_cmp_ne_u32_e32 vcc, 0, v2
	v_cndmask_b32_e64 v2, 0, 1, vcc
	v_lshrrev_b32_e32 v4, 8, v15
	v_bfe_u32 v7, v15, 20, 11
	v_and_or_b32 v2, v4, s10, v2
	v_sub_u32_e32 v10, 0x3f1, v7
	v_or_b32_e32 v4, 0x1000, v2
	v_med3_i32 v10, v10, 0, 13
	v_lshrrev_b32_e32 v11, v10, v4
	v_lshlrev_b32_e32 v10, v10, v11
	v_cmp_ne_u32_e32 vcc, v10, v4
	v_cndmask_b32_e64 v4, 0, 1, vcc
	v_add_u32_e32 v7, 0xfffffc10, v7
	v_or_b32_e32 v4, v11, v4
	v_lshl_or_b32 v10, v7, 12, v2
	v_cmp_gt_i32_e32 vcc, 1, v7
	v_cndmask_b32_e32 v4, v10, v4, vcc
	v_and_b32_e32 v10, 7, v4
	v_lshrrev_b32_e32 v14, 16, v3
	v_cmp_lt_i32_e32 vcc, 5, v10
	v_cmp_eq_u32_e64 s[2:3], 3, v10
	v_mul_f16_sdwa v10, v72, v14 dst_sel:DWORD dst_unused:UNUSED_PAD src0_sel:WORD_1 src1_sel:DWORD
	v_fma_f16 v10, v72, v3, v10
	v_cvt_f32_f16_e32 v10, v10
	v_lshrrev_b32_e32 v4, 2, v4
	s_or_b64 vcc, s[2:3], vcc
	v_addc_co_u32_e32 v4, vcc, 0, v4, vcc
	v_cvt_f64_f32_e32 v[10:11], v10
	v_cmp_gt_i32_e32 vcc, 31, v7
	v_cndmask_b32_e32 v4, v8, v4, vcc
	v_cmp_ne_u32_e32 vcc, 0, v2
	v_mul_f64 v[10:11], v[10:11], s[12:13]
	v_cndmask_b32_e64 v2, 0, 1, vcc
	v_lshl_or_b32 v2, v2, 9, v8
	v_cmp_eq_u32_e32 vcc, s11, v7
	v_cndmask_b32_e32 v2, v4, v2, vcc
	v_lshrrev_b32_e32 v4, 16, v15
	v_and_or_b32 v2, v4, s14, v2
	v_and_b32_e32 v0, 0xffff, v0
	v_add_co_u32_e32 v12, vcc, s4, v12
	v_lshl_or_b32 v0, v2, 16, v0
	v_addc_co_u32_e32 v13, vcc, v13, v6, vcc
	global_store_dword v[12:13], v0, off
	v_and_or_b32 v0, v11, s15, v10
	v_cmp_ne_u32_e32 vcc, 0, v0
	v_cndmask_b32_e64 v0, 0, 1, vcc
	v_lshrrev_b32_e32 v2, 8, v11
	v_bfe_u32 v4, v11, 20, 11
	v_and_or_b32 v0, v2, s10, v0
	v_sub_u32_e32 v6, 0x3f1, v4
	v_or_b32_e32 v2, 0x1000, v0
	v_med3_i32 v6, v6, 0, 13
	v_lshrrev_b32_e32 v7, v6, v2
	v_lshlrev_b32_e32 v6, v6, v7
	v_mul_f16_sdwa v3, v72, v3 dst_sel:DWORD dst_unused:UNUSED_PAD src0_sel:WORD_1 src1_sel:DWORD
	v_cmp_ne_u32_e32 vcc, v6, v2
	v_fma_f16 v3, v72, v14, -v3
	v_cndmask_b32_e64 v2, 0, 1, vcc
	v_add_u32_e32 v4, 0xfffffc10, v4
	v_cvt_f32_f16_e32 v3, v3
	v_or_b32_e32 v2, v7, v2
	v_lshl_or_b32 v6, v4, 12, v0
	v_cmp_gt_i32_e32 vcc, 1, v4
	v_cndmask_b32_e32 v2, v6, v2, vcc
	v_and_b32_e32 v6, 7, v2
	v_cmp_lt_i32_e32 vcc, 5, v6
	v_cmp_eq_u32_e64 s[2:3], 3, v6
	v_lshrrev_b32_e32 v6, 2, v2
	v_cvt_f64_f32_e32 v[2:3], v3
	s_or_b64 vcc, s[2:3], vcc
	v_addc_co_u32_e32 v6, vcc, 0, v6, vcc
	v_mul_f64 v[2:3], v[2:3], s[12:13]
	v_cmp_gt_i32_e32 vcc, 31, v4
	v_cndmask_b32_e32 v6, v8, v6, vcc
	v_cmp_ne_u32_e32 vcc, 0, v0
	v_cndmask_b32_e64 v0, 0, 1, vcc
	v_lshl_or_b32 v0, v0, 9, v8
	v_cmp_eq_u32_e32 vcc, s11, v4
	v_cndmask_b32_e32 v0, v6, v0, vcc
	v_and_or_b32 v2, v3, s15, v2
	v_lshrrev_b32_e32 v4, 16, v11
	v_cmp_ne_u32_e32 vcc, 0, v2
	v_and_or_b32 v0, v4, s14, v0
	v_cndmask_b32_e64 v2, 0, 1, vcc
	v_lshrrev_b32_e32 v4, 8, v3
	v_bfe_u32 v6, v3, 20, 11
	v_and_or_b32 v2, v4, s10, v2
	v_sub_u32_e32 v7, 0x3f1, v6
	v_or_b32_e32 v4, 0x1000, v2
	v_med3_i32 v7, v7, 0, 13
	v_lshrrev_b32_e32 v10, v7, v4
	v_lshlrev_b32_e32 v7, v7, v10
	v_cmp_ne_u32_e32 vcc, v7, v4
	v_cndmask_b32_e64 v4, 0, 1, vcc
	v_or_b32_e32 v4, v10, v4
	v_add_u32_e32 v10, 0xfffffc10, v6
	v_lshl_or_b32 v6, v10, 12, v2
	v_cmp_gt_i32_e32 vcc, 1, v10
	v_cndmask_b32_e32 v4, v6, v4, vcc
	v_and_b32_e32 v6, 7, v4
	v_lshrrev_b32_e32 v11, 16, v1
	v_cmp_lt_i32_e32 vcc, 5, v6
	v_cmp_eq_u32_e64 s[2:3], 3, v6
	v_mul_f16_sdwa v6, v71, v11 dst_sel:DWORD dst_unused:UNUSED_PAD src0_sel:WORD_1 src1_sel:DWORD
	v_fma_f16 v6, v71, v1, v6
	v_cvt_f32_f16_e32 v6, v6
	v_lshrrev_b32_e32 v4, 2, v4
	s_or_b64 vcc, s[2:3], vcc
	v_addc_co_u32_e32 v4, vcc, 0, v4, vcc
	v_cmp_gt_i32_e32 vcc, 31, v10
	v_cndmask_b32_e32 v4, v8, v4, vcc
	v_cmp_ne_u32_e32 vcc, 0, v2
	v_cvt_f64_f32_e32 v[6:7], v6
	v_cndmask_b32_e64 v2, 0, 1, vcc
	v_lshl_or_b32 v2, v2, 9, v8
	v_cmp_eq_u32_e32 vcc, s11, v10
	v_cndmask_b32_e32 v2, v4, v2, vcc
	v_lshrrev_b32_e32 v3, 16, v3
	v_and_or_b32 v4, v3, s14, v2
	v_mul_f64 v[2:3], v[6:7], s[12:13]
	v_and_b32_e32 v0, 0xffff, v0
	v_add_co_u32_e32 v6, vcc, s6, v12
	v_lshl_or_b32 v0, v4, 16, v0
	v_addc_co_u32_e32 v7, vcc, v13, v9, vcc
	global_store_dword v[6:7], v0, off
	v_and_or_b32 v0, v3, s15, v2
	v_cmp_ne_u32_e32 vcc, 0, v0
	v_cndmask_b32_e64 v0, 0, 1, vcc
	v_lshrrev_b32_e32 v2, 8, v3
	v_bfe_u32 v4, v3, 20, 11
	v_and_or_b32 v2, v2, s10, v0
	v_sub_u32_e32 v10, 0x3f1, v4
	v_or_b32_e32 v0, 0x1000, v2
	v_med3_i32 v10, v10, 0, 13
	v_lshrrev_b32_e32 v12, v10, v0
	v_lshlrev_b32_e32 v10, v10, v12
	v_mul_f16_sdwa v1, v71, v1 dst_sel:DWORD dst_unused:UNUSED_PAD src0_sel:WORD_1 src1_sel:DWORD
	v_cmp_ne_u32_e32 vcc, v10, v0
	v_fma_f16 v1, v71, v11, -v1
	v_cndmask_b32_e64 v0, 0, 1, vcc
	v_add_u32_e32 v4, 0xfffffc10, v4
	v_cvt_f32_f16_e32 v1, v1
	v_or_b32_e32 v0, v12, v0
	v_lshl_or_b32 v10, v4, 12, v2
	v_cmp_gt_i32_e32 vcc, 1, v4
	v_cndmask_b32_e32 v0, v10, v0, vcc
	v_and_b32_e32 v10, 7, v0
	v_cmp_lt_i32_e32 vcc, 5, v10
	v_cmp_eq_u32_e64 s[2:3], 3, v10
	v_lshrrev_b32_e32 v10, 2, v0
	v_cvt_f64_f32_e32 v[0:1], v1
	s_or_b64 vcc, s[2:3], vcc
	v_addc_co_u32_e32 v10, vcc, 0, v10, vcc
	v_mul_f64 v[0:1], v[0:1], s[12:13]
	v_cmp_gt_i32_e32 vcc, 31, v4
	v_cndmask_b32_e32 v10, v8, v10, vcc
	v_cmp_ne_u32_e32 vcc, 0, v2
	v_cndmask_b32_e64 v2, 0, 1, vcc
	v_lshl_or_b32 v2, v2, 9, v8
	v_cmp_eq_u32_e32 vcc, s11, v4
	v_cndmask_b32_e32 v2, v10, v2, vcc
	v_and_or_b32 v0, v1, s15, v0
	v_lshrrev_b32_e32 v3, 16, v3
	v_cmp_ne_u32_e32 vcc, 0, v0
	v_and_or_b32 v4, v3, s14, v2
	v_cndmask_b32_e64 v0, 0, 1, vcc
	v_lshrrev_b32_e32 v2, 8, v1
	v_bfe_u32 v3, v1, 20, 11
	v_and_or_b32 v0, v2, s10, v0
	v_sub_u32_e32 v10, 0x3f1, v3
	v_or_b32_e32 v2, 0x1000, v0
	v_med3_i32 v10, v10, 0, 13
	v_lshrrev_b32_e32 v11, v10, v2
	v_lshlrev_b32_e32 v10, v10, v11
	v_cmp_ne_u32_e32 vcc, v10, v2
	v_cndmask_b32_e64 v2, 0, 1, vcc
	v_add_u32_e32 v10, 0xfffffc10, v3
	v_or_b32_e32 v2, v11, v2
	v_lshl_or_b32 v3, v10, 12, v0
	v_cmp_gt_i32_e32 vcc, 1, v10
	v_cndmask_b32_e32 v2, v3, v2, vcc
	v_and_b32_e32 v3, 7, v2
	v_cmp_lt_i32_e32 vcc, 5, v3
	v_cmp_eq_u32_e64 s[2:3], 3, v3
	v_lshrrev_b32_e32 v2, 2, v2
	s_or_b64 vcc, s[2:3], vcc
	v_addc_co_u32_e32 v2, vcc, 0, v2, vcc
	v_cmp_gt_i32_e32 vcc, 31, v10
	v_lshrrev_b32_e32 v12, 16, v5
	v_cndmask_b32_e32 v11, v8, v2, vcc
	v_mul_f16_sdwa v2, v70, v12 dst_sel:DWORD dst_unused:UNUSED_PAD src0_sel:WORD_1 src1_sel:DWORD
	v_fma_f16 v2, v70, v5, v2
	v_cvt_f32_f16_e32 v2, v2
	v_cmp_ne_u32_e32 vcc, 0, v0
	v_cndmask_b32_e64 v0, 0, 1, vcc
	v_lshl_or_b32 v0, v0, 9, v8
	v_cvt_f64_f32_e32 v[2:3], v2
	v_cmp_eq_u32_e32 vcc, s11, v10
	v_cndmask_b32_e32 v0, v11, v0, vcc
	v_lshrrev_b32_e32 v1, 16, v1
	v_and_or_b32 v10, v1, s14, v0
	v_mul_f64 v[0:1], v[2:3], s[12:13]
	v_and_b32_e32 v2, 0xffff, v4
	v_lshl_or_b32 v4, v10, 16, v2
	v_add_co_u32_e32 v2, vcc, s6, v6
	v_addc_co_u32_e32 v3, vcc, v7, v9, vcc
	global_store_dword v[2:3], v4, off
	v_and_or_b32 v0, v1, s15, v0
	v_cmp_ne_u32_e32 vcc, 0, v0
	v_cndmask_b32_e64 v0, 0, 1, vcc
	v_lshrrev_b32_e32 v4, 8, v1
	v_bfe_u32 v6, v1, 20, 11
	v_and_or_b32 v0, v4, s10, v0
	v_sub_u32_e32 v7, 0x3f1, v6
	v_or_b32_e32 v4, 0x1000, v0
	v_med3_i32 v7, v7, 0, 13
	v_lshrrev_b32_e32 v10, v7, v4
	v_lshlrev_b32_e32 v7, v7, v10
	v_mul_f16_sdwa v5, v70, v5 dst_sel:DWORD dst_unused:UNUSED_PAD src0_sel:WORD_1 src1_sel:DWORD
	v_cmp_ne_u32_e32 vcc, v7, v4
	v_fma_f16 v5, v70, v12, -v5
	v_cndmask_b32_e64 v4, 0, 1, vcc
	v_add_u32_e32 v6, 0xfffffc10, v6
	v_cvt_f32_f16_e32 v5, v5
	v_or_b32_e32 v4, v10, v4
	v_lshl_or_b32 v7, v6, 12, v0
	v_cmp_gt_i32_e32 vcc, 1, v6
	v_cndmask_b32_e32 v4, v7, v4, vcc
	v_and_b32_e32 v7, 7, v4
	v_cmp_lt_i32_e32 vcc, 5, v7
	v_cmp_eq_u32_e64 s[2:3], 3, v7
	v_lshrrev_b32_e32 v7, 2, v4
	v_cvt_f64_f32_e32 v[4:5], v5
	s_or_b64 vcc, s[2:3], vcc
	v_addc_co_u32_e32 v7, vcc, 0, v7, vcc
	v_mul_f64 v[4:5], v[4:5], s[12:13]
	v_cmp_gt_i32_e32 vcc, 31, v6
	v_cndmask_b32_e32 v7, v8, v7, vcc
	v_cmp_ne_u32_e32 vcc, 0, v0
	v_cndmask_b32_e64 v0, 0, 1, vcc
	v_lshl_or_b32 v0, v0, 9, v8
	v_cmp_eq_u32_e32 vcc, s11, v6
	v_cndmask_b32_e32 v0, v7, v0, vcc
	v_lshrrev_b32_e32 v1, 16, v1
	v_and_or_b32 v6, v1, s14, v0
	v_and_or_b32 v0, v5, s15, v4
	v_cmp_ne_u32_e32 vcc, 0, v0
	v_cndmask_b32_e64 v0, 0, 1, vcc
	v_lshrrev_b32_e32 v1, 8, v5
	v_bfe_u32 v4, v5, 20, 11
	v_and_or_b32 v0, v1, s10, v0
	v_sub_u32_e32 v7, 0x3f1, v4
	v_or_b32_e32 v1, 0x1000, v0
	v_med3_i32 v7, v7, 0, 13
	v_lshrrev_b32_e32 v10, v7, v1
	v_lshlrev_b32_e32 v7, v7, v10
	v_cmp_ne_u32_e32 vcc, v7, v1
	v_cndmask_b32_e64 v1, 0, 1, vcc
	v_add_u32_e32 v4, 0xfffffc10, v4
	v_or_b32_e32 v1, v10, v1
	v_lshl_or_b32 v7, v4, 12, v0
	v_cmp_gt_i32_e32 vcc, 1, v4
	v_cndmask_b32_e32 v1, v7, v1, vcc
	v_and_b32_e32 v7, 7, v1
	v_cmp_lt_i32_e32 vcc, 5, v7
	v_cmp_eq_u32_e64 s[2:3], 3, v7
	ds_read_b32 v7, v68 offset:4440
	v_lshrrev_b32_e32 v1, 2, v1
	s_or_b64 vcc, s[2:3], vcc
	v_addc_co_u32_e32 v1, vcc, 0, v1, vcc
	v_cmp_gt_i32_e32 vcc, 31, v4
	s_waitcnt lgkmcnt(0)
	v_lshrrev_b32_e32 v11, 16, v7
	v_cndmask_b32_e32 v10, v8, v1, vcc
	v_mul_f16_sdwa v1, v69, v11 dst_sel:DWORD dst_unused:UNUSED_PAD src0_sel:WORD_1 src1_sel:DWORD
	v_fma_f16 v1, v69, v7, v1
	v_cvt_f32_f16_e32 v1, v1
	v_cmp_ne_u32_e32 vcc, 0, v0
	v_cndmask_b32_e64 v0, 0, 1, vcc
	v_lshl_or_b32 v12, v0, 9, v8
	v_cvt_f64_f32_e32 v[0:1], v1
	v_cmp_eq_u32_e32 vcc, s11, v4
	v_cndmask_b32_e32 v4, v10, v12, vcc
	v_lshrrev_b32_e32 v5, 16, v5
	v_mul_f64 v[0:1], v[0:1], s[12:13]
	v_add_co_u32_e32 v2, vcc, s6, v2
	v_and_or_b32 v4, v5, s14, v4
	v_and_b32_e32 v5, 0xffff, v6
	v_addc_co_u32_e32 v3, vcc, v3, v9, vcc
	v_lshl_or_b32 v4, v4, 16, v5
	v_and_or_b32 v0, v1, s15, v0
	v_cmp_ne_u32_e32 vcc, 0, v0
	global_store_dword v[2:3], v4, off
	v_cndmask_b32_e64 v0, 0, 1, vcc
	v_lshrrev_b32_e32 v4, 8, v1
	v_bfe_u32 v5, v1, 20, 11
	v_and_or_b32 v0, v4, s10, v0
	v_sub_u32_e32 v6, 0x3f1, v5
	v_or_b32_e32 v4, 0x1000, v0
	v_med3_i32 v6, v6, 0, 13
	v_lshrrev_b32_e32 v10, v6, v4
	v_lshlrev_b32_e32 v6, v6, v10
	v_mul_f16_sdwa v7, v69, v7 dst_sel:DWORD dst_unused:UNUSED_PAD src0_sel:WORD_1 src1_sel:DWORD
	v_cmp_ne_u32_e32 vcc, v6, v4
	v_fma_f16 v7, v69, v11, -v7
	v_cndmask_b32_e64 v4, 0, 1, vcc
	v_add_u32_e32 v6, 0xfffffc10, v5
	v_cvt_f32_f16_e32 v7, v7
	v_or_b32_e32 v4, v10, v4
	v_lshl_or_b32 v5, v6, 12, v0
	v_cmp_gt_i32_e32 vcc, 1, v6
	v_cndmask_b32_e32 v4, v5, v4, vcc
	v_and_b32_e32 v5, 7, v4
	v_cmp_lt_i32_e32 vcc, 5, v5
	v_cmp_eq_u32_e64 s[2:3], 3, v5
	v_lshrrev_b32_e32 v10, 2, v4
	v_cvt_f64_f32_e32 v[4:5], v7
	s_or_b64 vcc, s[2:3], vcc
	v_addc_co_u32_e32 v7, vcc, 0, v10, vcc
	v_mul_f64 v[4:5], v[4:5], s[12:13]
	v_cmp_gt_i32_e32 vcc, 31, v6
	v_cndmask_b32_e32 v7, v8, v7, vcc
	v_cmp_ne_u32_e32 vcc, 0, v0
	v_cndmask_b32_e64 v0, 0, 1, vcc
	v_lshl_or_b32 v0, v0, 9, v8
	v_cmp_eq_u32_e32 vcc, s11, v6
	v_cndmask_b32_e32 v0, v7, v0, vcc
	v_lshrrev_b32_e32 v1, 16, v1
	v_and_or_b32 v0, v1, s14, v0
	v_and_or_b32 v1, v5, s15, v4
	v_cmp_ne_u32_e32 vcc, 0, v1
	v_cndmask_b32_e64 v1, 0, 1, vcc
	v_lshrrev_b32_e32 v4, 8, v5
	v_bfe_u32 v6, v5, 20, 11
	v_and_or_b32 v1, v4, s10, v1
	v_sub_u32_e32 v7, 0x3f1, v6
	v_or_b32_e32 v4, 0x1000, v1
	v_med3_i32 v7, v7, 0, 13
	v_lshrrev_b32_e32 v10, v7, v4
	v_lshlrev_b32_e32 v7, v7, v10
	v_cmp_ne_u32_e32 vcc, v7, v4
	v_cndmask_b32_e64 v4, 0, 1, vcc
	v_add_u32_e32 v6, 0xfffffc10, v6
	v_or_b32_e32 v4, v10, v4
	v_lshl_or_b32 v7, v6, 12, v1
	v_cmp_gt_i32_e32 vcc, 1, v6
	v_cndmask_b32_e32 v4, v7, v4, vcc
	v_and_b32_e32 v7, 7, v4
	v_cmp_lt_i32_e32 vcc, 5, v7
	v_cmp_eq_u32_e64 s[2:3], 3, v7
	v_lshrrev_b32_e32 v4, 2, v4
	s_or_b64 vcc, s[2:3], vcc
	v_addc_co_u32_e32 v4, vcc, 0, v4, vcc
	v_cmp_gt_i32_e32 vcc, 31, v6
	v_cndmask_b32_e32 v4, v8, v4, vcc
	v_cmp_ne_u32_e32 vcc, 0, v1
	v_cndmask_b32_e64 v1, 0, 1, vcc
	v_lshl_or_b32 v1, v1, 9, v8
	v_cmp_eq_u32_e32 vcc, s11, v6
	v_cndmask_b32_e32 v1, v4, v1, vcc
	v_lshrrev_b32_e32 v4, 16, v5
	v_and_or_b32 v1, v4, s14, v1
	v_and_b32_e32 v0, 0xffff, v0
	v_lshl_or_b32 v4, v1, 16, v0
	v_add_co_u32_e32 v0, vcc, s6, v2
	v_addc_co_u32_e32 v1, vcc, v3, v9, vcc
	global_store_dword v[0:1], v4, off
	s_and_b64 exec, exec, s[0:1]
	s_cbranch_execz .LBB0_31
; %bb.30:
	global_load_dword v2, v[31:32], off offset:900
	ds_read_b32 v3, v85 offset:900
	v_mov_b32_e32 v7, s5
	v_add_co_u32_e32 v6, vcc, s4, v0
	v_addc_co_u32_e32 v7, vcc, v1, v7, vcc
	s_waitcnt lgkmcnt(0)
	v_lshrrev_b32_e32 v4, 16, v3
	s_waitcnt vmcnt(0)
	v_mul_f16_sdwa v5, v4, v2 dst_sel:DWORD dst_unused:UNUSED_PAD src0_sel:DWORD src1_sel:WORD_1
	v_fma_f16 v5, v3, v2, v5
	v_mul_f16_sdwa v3, v3, v2 dst_sel:DWORD dst_unused:UNUSED_PAD src0_sel:DWORD src1_sel:WORD_1
	v_cvt_f32_f16_e32 v5, v5
	v_fma_f16 v2, v2, v4, -v3
	v_cvt_f32_f16_e32 v4, v2
	v_cvt_f64_f32_e32 v[2:3], v5
	v_cvt_f64_f32_e32 v[4:5], v4
	v_mul_f64 v[2:3], v[2:3], s[12:13]
	v_mul_f64 v[4:5], v[4:5], s[12:13]
	v_and_or_b32 v0, v3, s15, v2
	v_cmp_ne_u32_e32 vcc, 0, v0
	v_and_or_b32 v4, v5, s15, v4
	v_lshrrev_b32_e32 v1, 8, v3
	v_bfe_u32 v2, v3, 20, 11
	v_cndmask_b32_e64 v0, 0, 1, vcc
	v_cmp_ne_u32_e32 vcc, 0, v4
	v_lshrrev_b32_e32 v9, 8, v5
	v_bfe_u32 v10, v5, 20, 11
	v_sub_u32_e32 v11, 0x3f1, v2
	v_cndmask_b32_e64 v4, 0, 1, vcc
	v_and_or_b32 v0, v1, s10, v0
	v_sub_u32_e32 v12, 0x3f1, v10
	v_med3_i32 v1, v11, 0, 13
	v_and_or_b32 v4, v9, s10, v4
	v_or_b32_e32 v11, 0x1000, v0
	v_add_u32_e32 v2, 0xfffffc10, v2
	v_med3_i32 v9, v12, 0, 13
	v_cmp_ne_u32_e32 vcc, 0, v0
	v_or_b32_e32 v13, 0x1000, v4
	v_lshrrev_b32_e32 v15, v1, v11
	v_add_u32_e32 v10, 0xfffffc10, v10
	v_lshl_or_b32 v12, v2, 12, v0
	v_cndmask_b32_e64 v0, 0, 1, vcc
	v_cmp_ne_u32_e32 vcc, 0, v4
	v_lshrrev_b32_e32 v16, v9, v13
	v_lshlrev_b32_e32 v1, v1, v15
	v_lshl_or_b32 v14, v10, 12, v4
	v_cndmask_b32_e64 v4, 0, 1, vcc
	v_lshlrev_b32_e32 v9, v9, v16
	v_cmp_ne_u32_e32 vcc, v1, v11
	v_cndmask_b32_e64 v1, 0, 1, vcc
	v_cmp_ne_u32_e32 vcc, v9, v13
	v_cndmask_b32_e64 v9, 0, 1, vcc
	v_or_b32_e32 v1, v15, v1
	v_cmp_gt_i32_e32 vcc, 1, v2
	v_cndmask_b32_e32 v1, v12, v1, vcc
	v_or_b32_e32 v9, v16, v9
	v_cmp_gt_i32_e32 vcc, 1, v10
	v_and_b32_e32 v11, 7, v1
	v_cndmask_b32_e32 v9, v14, v9, vcc
	v_cmp_lt_i32_e32 vcc, 5, v11
	v_cmp_eq_u32_e64 s[0:1], 3, v11
	v_lshrrev_b32_e32 v1, 2, v1
	v_and_b32_e32 v12, 7, v9
	s_or_b64 vcc, s[0:1], vcc
	v_cmp_lt_i32_e64 s[2:3], 5, v12
	v_cmp_eq_u32_e64 s[4:5], 3, v12
	v_addc_co_u32_e32 v1, vcc, 0, v1, vcc
	v_lshrrev_b32_e32 v9, 2, v9
	s_or_b64 vcc, s[4:5], s[2:3]
	v_addc_co_u32_e32 v9, vcc, 0, v9, vcc
	v_cmp_gt_i32_e32 vcc, 31, v2
	v_cndmask_b32_e32 v1, v8, v1, vcc
	v_cmp_gt_i32_e32 vcc, 31, v10
	v_lshl_or_b32 v0, v0, 9, v8
	v_cndmask_b32_e32 v9, v8, v9, vcc
	v_cmp_eq_u32_e32 vcc, s11, v2
	v_lshrrev_b32_e32 v3, 16, v3
	v_lshl_or_b32 v4, v4, 9, v8
	v_cndmask_b32_e32 v0, v1, v0, vcc
	v_cmp_eq_u32_e32 vcc, s11, v10
	v_lshrrev_b32_e32 v5, 16, v5
	v_cndmask_b32_e32 v1, v9, v4, vcc
	v_and_or_b32 v0, v3, s14, v0
	v_and_or_b32 v1, v5, s14, v1
	v_and_b32_e32 v0, 0xffff, v0
	v_lshl_or_b32 v0, v1, 16, v0
	global_store_dword v[6:7], v0, off
	global_load_dword v2, v[31:32], off offset:1860
	v_add_u32_e32 v0, 0x740, v68
	ds_read2_b32 v[0:1], v0 offset0:1 offset1:241
	v_add_co_u32_e32 v6, vcc, s6, v6
	s_waitcnt lgkmcnt(0)
	v_lshrrev_b32_e32 v3, 16, v0
	s_waitcnt vmcnt(0)
	v_mul_f16_sdwa v4, v3, v2 dst_sel:DWORD dst_unused:UNUSED_PAD src0_sel:DWORD src1_sel:WORD_1
	v_fma_f16 v4, v0, v2, v4
	v_mul_f16_sdwa v0, v0, v2 dst_sel:DWORD dst_unused:UNUSED_PAD src0_sel:DWORD src1_sel:WORD_1
	v_cvt_f32_f16_e32 v4, v4
	v_fma_f16 v0, v2, v3, -v0
	v_cvt_f32_f16_e32 v0, v0
	v_cvt_f64_f32_e32 v[2:3], v4
	v_cvt_f64_f32_e32 v[4:5], v0
	v_mov_b32_e32 v0, s7
	v_mul_f64 v[2:3], v[2:3], s[12:13]
	v_addc_co_u32_e32 v7, vcc, v7, v0, vcc
	v_mul_f64 v[4:5], v[4:5], s[12:13]
	v_and_or_b32 v2, v3, s15, v2
	v_cmp_ne_u32_e32 vcc, 0, v2
	v_lshrrev_b32_e32 v9, 8, v3
	v_and_or_b32 v4, v5, s15, v4
	v_bfe_u32 v10, v3, 20, 11
	v_cndmask_b32_e64 v2, 0, 1, vcc
	v_cmp_ne_u32_e32 vcc, 0, v4
	v_lshrrev_b32_e32 v11, 8, v5
	v_bfe_u32 v12, v5, 20, 11
	v_sub_u32_e32 v13, 0x3f1, v10
	v_cndmask_b32_e64 v4, 0, 1, vcc
	v_and_or_b32 v2, v9, s10, v2
	v_sub_u32_e32 v14, 0x3f1, v12
	v_med3_i32 v9, v13, 0, 13
	v_and_or_b32 v4, v11, s10, v4
	v_or_b32_e32 v13, 0x1000, v2
	v_add_u32_e32 v10, 0xfffffc10, v10
	v_med3_i32 v11, v14, 0, 13
	v_cmp_ne_u32_e32 vcc, 0, v2
	v_or_b32_e32 v15, 0x1000, v4
	v_lshrrev_b32_e32 v17, v9, v13
	v_add_u32_e32 v12, 0xfffffc10, v12
	v_lshl_or_b32 v14, v10, 12, v2
	v_cndmask_b32_e64 v2, 0, 1, vcc
	v_cmp_ne_u32_e32 vcc, 0, v4
	v_lshrrev_b32_e32 v18, v11, v15
	v_lshlrev_b32_e32 v9, v9, v17
	v_lshl_or_b32 v16, v12, 12, v4
	v_cndmask_b32_e64 v4, 0, 1, vcc
	v_lshlrev_b32_e32 v11, v11, v18
	v_cmp_ne_u32_e32 vcc, v9, v13
	v_cndmask_b32_e64 v9, 0, 1, vcc
	v_cmp_ne_u32_e32 vcc, v11, v15
	v_cndmask_b32_e64 v11, 0, 1, vcc
	v_or_b32_e32 v9, v17, v9
	v_cmp_gt_i32_e32 vcc, 1, v10
	v_cndmask_b32_e32 v9, v14, v9, vcc
	v_or_b32_e32 v11, v18, v11
	v_cmp_gt_i32_e32 vcc, 1, v12
	v_and_b32_e32 v13, 7, v9
	v_cndmask_b32_e32 v11, v16, v11, vcc
	v_cmp_lt_i32_e32 vcc, 5, v13
	v_cmp_eq_u32_e64 s[0:1], 3, v13
	v_lshrrev_b32_e32 v9, 2, v9
	v_and_b32_e32 v14, 7, v11
	s_or_b64 vcc, s[0:1], vcc
	v_cmp_lt_i32_e64 s[2:3], 5, v14
	v_cmp_eq_u32_e64 s[4:5], 3, v14
	v_addc_co_u32_e32 v9, vcc, 0, v9, vcc
	v_lshrrev_b32_e32 v11, 2, v11
	s_or_b64 vcc, s[4:5], s[2:3]
	v_addc_co_u32_e32 v11, vcc, 0, v11, vcc
	v_cmp_gt_i32_e32 vcc, 31, v10
	v_cndmask_b32_e32 v9, v8, v9, vcc
	v_cmp_gt_i32_e32 vcc, 31, v12
	v_lshl_or_b32 v2, v2, 9, v8
	v_cndmask_b32_e32 v11, v8, v11, vcc
	v_cmp_eq_u32_e32 vcc, s11, v10
	v_lshrrev_b32_e32 v3, 16, v3
	v_lshl_or_b32 v4, v4, 9, v8
	v_cndmask_b32_e32 v2, v9, v2, vcc
	v_cmp_eq_u32_e32 vcc, s11, v12
	v_lshrrev_b32_e32 v5, 16, v5
	v_cndmask_b32_e32 v4, v11, v4, vcc
	v_and_or_b32 v2, v3, s14, v2
	v_and_or_b32 v3, v5, s14, v4
	v_and_b32_e32 v2, 0xffff, v2
	v_lshl_or_b32 v2, v3, 16, v2
	global_store_dword v[6:7], v2, off
	global_load_dword v2, v[31:32], off offset:2820
	v_lshrrev_b32_e32 v3, 16, v1
	v_add_co_u32_e32 v5, vcc, s6, v6
	v_addc_co_u32_e32 v6, vcc, v7, v0, vcc
	s_waitcnt vmcnt(0)
	v_mul_f16_sdwa v4, v3, v2 dst_sel:DWORD dst_unused:UNUSED_PAD src0_sel:DWORD src1_sel:WORD_1
	v_fma_f16 v4, v1, v2, v4
	v_mul_f16_sdwa v1, v1, v2 dst_sel:DWORD dst_unused:UNUSED_PAD src0_sel:DWORD src1_sel:WORD_1
	v_cvt_f32_f16_e32 v4, v4
	v_fma_f16 v1, v2, v3, -v1
	v_cvt_f32_f16_e32 v3, v1
	v_cvt_f64_f32_e32 v[1:2], v4
	v_cvt_f64_f32_e32 v[3:4], v3
	v_mul_f64 v[1:2], v[1:2], s[12:13]
	v_mul_f64 v[3:4], v[3:4], s[12:13]
	v_and_or_b32 v1, v2, s15, v1
	v_cmp_ne_u32_e32 vcc, 0, v1
	v_and_or_b32 v3, v4, s15, v3
	v_lshrrev_b32_e32 v7, 8, v2
	v_bfe_u32 v9, v2, 20, 11
	v_cndmask_b32_e64 v1, 0, 1, vcc
	v_cmp_ne_u32_e32 vcc, 0, v3
	v_lshrrev_b32_e32 v10, 8, v4
	v_bfe_u32 v11, v4, 20, 11
	v_sub_u32_e32 v12, 0x3f1, v9
	v_cndmask_b32_e64 v3, 0, 1, vcc
	v_and_or_b32 v1, v7, s10, v1
	v_sub_u32_e32 v13, 0x3f1, v11
	v_med3_i32 v7, v12, 0, 13
	v_and_or_b32 v3, v10, s10, v3
	v_or_b32_e32 v12, 0x1000, v1
	v_add_u32_e32 v9, 0xfffffc10, v9
	v_med3_i32 v10, v13, 0, 13
	v_cmp_ne_u32_e32 vcc, 0, v1
	v_or_b32_e32 v14, 0x1000, v3
	v_lshrrev_b32_e32 v16, v7, v12
	v_add_u32_e32 v11, 0xfffffc10, v11
	v_lshl_or_b32 v13, v9, 12, v1
	v_cndmask_b32_e64 v1, 0, 1, vcc
	v_cmp_ne_u32_e32 vcc, 0, v3
	v_lshrrev_b32_e32 v17, v10, v14
	v_lshlrev_b32_e32 v7, v7, v16
	v_lshl_or_b32 v15, v11, 12, v3
	v_cndmask_b32_e64 v3, 0, 1, vcc
	v_lshlrev_b32_e32 v10, v10, v17
	v_cmp_ne_u32_e32 vcc, v7, v12
	v_cndmask_b32_e64 v7, 0, 1, vcc
	v_cmp_ne_u32_e32 vcc, v10, v14
	v_cndmask_b32_e64 v10, 0, 1, vcc
	v_or_b32_e32 v7, v16, v7
	v_cmp_gt_i32_e32 vcc, 1, v9
	v_cndmask_b32_e32 v7, v13, v7, vcc
	v_or_b32_e32 v10, v17, v10
	v_cmp_gt_i32_e32 vcc, 1, v11
	v_and_b32_e32 v12, 7, v7
	v_cndmask_b32_e32 v10, v15, v10, vcc
	v_cmp_lt_i32_e32 vcc, 5, v12
	v_cmp_eq_u32_e64 s[0:1], 3, v12
	v_lshrrev_b32_e32 v7, 2, v7
	v_and_b32_e32 v13, 7, v10
	s_or_b64 vcc, s[0:1], vcc
	v_cmp_lt_i32_e64 s[2:3], 5, v13
	v_cmp_eq_u32_e64 s[4:5], 3, v13
	v_addc_co_u32_e32 v7, vcc, 0, v7, vcc
	v_lshrrev_b32_e32 v10, 2, v10
	s_or_b64 vcc, s[4:5], s[2:3]
	v_addc_co_u32_e32 v10, vcc, 0, v10, vcc
	v_cmp_gt_i32_e32 vcc, 31, v9
	v_cndmask_b32_e32 v7, v8, v7, vcc
	v_cmp_gt_i32_e32 vcc, 31, v11
	v_lshl_or_b32 v1, v1, 9, v8
	v_cndmask_b32_e32 v10, v8, v10, vcc
	v_cmp_eq_u32_e32 vcc, s11, v9
	v_lshrrev_b32_e32 v2, 16, v2
	v_lshl_or_b32 v3, v3, 9, v8
	v_cndmask_b32_e32 v1, v7, v1, vcc
	v_cmp_eq_u32_e32 vcc, s11, v11
	v_lshrrev_b32_e32 v4, 16, v4
	v_cndmask_b32_e32 v3, v10, v3, vcc
	v_and_or_b32 v1, v2, s14, v1
	v_and_or_b32 v2, v4, s14, v3
	v_and_b32_e32 v1, 0xffff, v1
	v_lshl_or_b32 v1, v2, 16, v1
	global_store_dword v[5:6], v1, off
	global_load_dword v3, v[31:32], off offset:3780
	v_add_u32_e32 v1, 0xec0, v68
	ds_read2_b32 v[1:2], v1 offset0:1 offset1:241
	v_add_co_u32_e32 v11, vcc, s16, v31
	v_addc_co_u32_e32 v12, vcc, 0, v32, vcc
	s_waitcnt lgkmcnt(0)
	v_lshrrev_b32_e32 v4, 16, v1
	v_add_co_u32_e32 v5, vcc, s6, v5
	v_addc_co_u32_e32 v6, vcc, v6, v0, vcc
	s_waitcnt vmcnt(0)
	v_mul_f16_sdwa v7, v4, v3 dst_sel:DWORD dst_unused:UNUSED_PAD src0_sel:DWORD src1_sel:WORD_1
	v_fma_f16 v7, v1, v3, v7
	v_mul_f16_sdwa v1, v1, v3 dst_sel:DWORD dst_unused:UNUSED_PAD src0_sel:DWORD src1_sel:WORD_1
	v_cvt_f32_f16_e32 v7, v7
	v_fma_f16 v1, v3, v4, -v1
	v_cvt_f32_f16_e32 v1, v1
	v_cvt_f64_f32_e32 v[3:4], v7
	v_cvt_f64_f32_e32 v[9:10], v1
	v_mul_f64 v[3:4], v[3:4], s[12:13]
	v_mul_f64 v[9:10], v[9:10], s[12:13]
	v_and_or_b32 v1, v4, s15, v3
	v_cmp_ne_u32_e32 vcc, 0, v1
	v_and_or_b32 v9, v10, s15, v9
	v_lshrrev_b32_e32 v3, 8, v4
	v_bfe_u32 v7, v4, 20, 11
	v_cndmask_b32_e64 v1, 0, 1, vcc
	v_cmp_ne_u32_e32 vcc, 0, v9
	v_lshrrev_b32_e32 v13, 8, v10
	v_bfe_u32 v14, v10, 20, 11
	v_sub_u32_e32 v15, 0x3f1, v7
	v_cndmask_b32_e64 v9, 0, 1, vcc
	v_and_or_b32 v1, v3, s10, v1
	v_sub_u32_e32 v16, 0x3f1, v14
	v_med3_i32 v3, v15, 0, 13
	v_and_or_b32 v9, v13, s10, v9
	v_or_b32_e32 v15, 0x1000, v1
	v_add_u32_e32 v7, 0xfffffc10, v7
	v_med3_i32 v13, v16, 0, 13
	v_cmp_ne_u32_e32 vcc, 0, v1
	v_or_b32_e32 v17, 0x1000, v9
	v_lshrrev_b32_e32 v19, v3, v15
	v_add_u32_e32 v14, 0xfffffc10, v14
	v_lshl_or_b32 v16, v7, 12, v1
	v_cndmask_b32_e64 v1, 0, 1, vcc
	v_cmp_ne_u32_e32 vcc, 0, v9
	v_lshrrev_b32_e32 v20, v13, v17
	v_lshlrev_b32_e32 v3, v3, v19
	v_lshl_or_b32 v18, v14, 12, v9
	v_cndmask_b32_e64 v9, 0, 1, vcc
	v_lshlrev_b32_e32 v13, v13, v20
	v_cmp_ne_u32_e32 vcc, v3, v15
	v_cndmask_b32_e64 v3, 0, 1, vcc
	v_cmp_ne_u32_e32 vcc, v13, v17
	v_cndmask_b32_e64 v13, 0, 1, vcc
	v_or_b32_e32 v3, v19, v3
	v_cmp_gt_i32_e32 vcc, 1, v7
	v_cndmask_b32_e32 v3, v16, v3, vcc
	v_or_b32_e32 v13, v20, v13
	v_cmp_gt_i32_e32 vcc, 1, v14
	v_and_b32_e32 v15, 7, v3
	v_cndmask_b32_e32 v13, v18, v13, vcc
	v_cmp_lt_i32_e32 vcc, 5, v15
	v_cmp_eq_u32_e64 s[0:1], 3, v15
	v_lshrrev_b32_e32 v3, 2, v3
	v_and_b32_e32 v16, 7, v13
	s_or_b64 vcc, s[0:1], vcc
	v_cmp_lt_i32_e64 s[2:3], 5, v16
	v_cmp_eq_u32_e64 s[4:5], 3, v16
	v_addc_co_u32_e32 v3, vcc, 0, v3, vcc
	v_lshrrev_b32_e32 v13, 2, v13
	s_or_b64 vcc, s[4:5], s[2:3]
	v_addc_co_u32_e32 v13, vcc, 0, v13, vcc
	v_cmp_gt_i32_e32 vcc, 31, v7
	v_cndmask_b32_e32 v3, v8, v3, vcc
	v_cmp_gt_i32_e32 vcc, 31, v14
	v_lshl_or_b32 v1, v1, 9, v8
	v_cndmask_b32_e32 v13, v8, v13, vcc
	v_cmp_eq_u32_e32 vcc, s11, v7
	v_lshrrev_b32_e32 v4, 16, v4
	v_lshl_or_b32 v9, v9, 9, v8
	v_cndmask_b32_e32 v1, v3, v1, vcc
	v_cmp_eq_u32_e32 vcc, s11, v14
	v_lshrrev_b32_e32 v10, 16, v10
	v_cndmask_b32_e32 v3, v13, v9, vcc
	v_and_or_b32 v1, v4, s14, v1
	v_and_or_b32 v3, v10, s14, v3
	v_and_b32_e32 v1, 0xffff, v1
	v_lshl_or_b32 v1, v3, 16, v1
	global_store_dword v[5:6], v1, off
	global_load_dword v1, v[11:12], off offset:644
	v_lshrrev_b32_e32 v3, 16, v2
	s_waitcnt vmcnt(0)
	v_mul_f16_sdwa v4, v3, v1 dst_sel:DWORD dst_unused:UNUSED_PAD src0_sel:DWORD src1_sel:WORD_1
	v_fma_f16 v4, v2, v1, v4
	v_mul_f16_sdwa v2, v2, v1 dst_sel:DWORD dst_unused:UNUSED_PAD src0_sel:DWORD src1_sel:WORD_1
	v_cvt_f32_f16_e32 v4, v4
	v_fma_f16 v1, v1, v3, -v2
	v_cvt_f32_f16_e32 v3, v1
	v_cvt_f64_f32_e32 v[1:2], v4
	v_cvt_f64_f32_e32 v[3:4], v3
	v_mul_f64 v[1:2], v[1:2], s[12:13]
	v_mul_f64 v[3:4], v[3:4], s[12:13]
	v_and_or_b32 v1, v2, s15, v1
	v_cmp_ne_u32_e32 vcc, 0, v1
	v_and_or_b32 v3, v4, s15, v3
	v_lshrrev_b32_e32 v7, 8, v2
	v_bfe_u32 v9, v2, 20, 11
	v_cndmask_b32_e64 v1, 0, 1, vcc
	v_cmp_ne_u32_e32 vcc, 0, v3
	v_lshrrev_b32_e32 v10, 8, v4
	v_bfe_u32 v11, v4, 20, 11
	v_sub_u32_e32 v12, 0x3f1, v9
	v_cndmask_b32_e64 v3, 0, 1, vcc
	v_and_or_b32 v1, v7, s10, v1
	v_sub_u32_e32 v13, 0x3f1, v11
	v_med3_i32 v7, v12, 0, 13
	v_and_or_b32 v3, v10, s10, v3
	v_or_b32_e32 v12, 0x1000, v1
	v_add_u32_e32 v9, 0xfffffc10, v9
	v_med3_i32 v10, v13, 0, 13
	v_cmp_ne_u32_e32 vcc, 0, v1
	v_or_b32_e32 v14, 0x1000, v3
	v_lshrrev_b32_e32 v16, v7, v12
	v_add_u32_e32 v11, 0xfffffc10, v11
	v_lshl_or_b32 v13, v9, 12, v1
	v_cndmask_b32_e64 v1, 0, 1, vcc
	v_cmp_ne_u32_e32 vcc, 0, v3
	v_lshrrev_b32_e32 v17, v10, v14
	v_lshlrev_b32_e32 v7, v7, v16
	v_lshl_or_b32 v15, v11, 12, v3
	v_cndmask_b32_e64 v3, 0, 1, vcc
	v_lshlrev_b32_e32 v10, v10, v17
	v_cmp_ne_u32_e32 vcc, v7, v12
	v_cndmask_b32_e64 v7, 0, 1, vcc
	v_cmp_ne_u32_e32 vcc, v10, v14
	v_cndmask_b32_e64 v10, 0, 1, vcc
	v_or_b32_e32 v7, v16, v7
	v_cmp_gt_i32_e32 vcc, 1, v9
	v_cndmask_b32_e32 v7, v13, v7, vcc
	v_or_b32_e32 v10, v17, v10
	v_cmp_gt_i32_e32 vcc, 1, v11
	v_and_b32_e32 v12, 7, v7
	v_cndmask_b32_e32 v10, v15, v10, vcc
	v_cmp_lt_i32_e32 vcc, 5, v12
	v_cmp_eq_u32_e64 s[0:1], 3, v12
	v_lshrrev_b32_e32 v7, 2, v7
	v_and_b32_e32 v13, 7, v10
	s_or_b64 vcc, s[0:1], vcc
	v_cmp_lt_i32_e64 s[2:3], 5, v13
	v_cmp_eq_u32_e64 s[4:5], 3, v13
	v_addc_co_u32_e32 v7, vcc, 0, v7, vcc
	v_lshrrev_b32_e32 v10, 2, v10
	s_or_b64 vcc, s[4:5], s[2:3]
	v_addc_co_u32_e32 v10, vcc, 0, v10, vcc
	v_cmp_gt_i32_e32 vcc, 31, v9
	v_cndmask_b32_e32 v7, v8, v7, vcc
	v_cmp_gt_i32_e32 vcc, 31, v11
	v_lshl_or_b32 v1, v1, 9, v8
	v_lshl_or_b32 v3, v3, 9, v8
	v_cndmask_b32_e32 v8, v8, v10, vcc
	v_cmp_eq_u32_e32 vcc, s11, v9
	v_lshrrev_b32_e32 v2, 16, v2
	v_cndmask_b32_e32 v1, v7, v1, vcc
	v_cmp_eq_u32_e32 vcc, s11, v11
	v_lshrrev_b32_e32 v4, 16, v4
	v_cndmask_b32_e32 v3, v8, v3, vcc
	v_and_or_b32 v1, v2, s14, v1
	v_and_or_b32 v2, v4, s14, v3
	v_and_b32_e32 v1, 0xffff, v1
	v_lshl_or_b32 v3, v2, 16, v1
	v_add_co_u32_e32 v1, vcc, s6, v5
	v_addc_co_u32_e32 v2, vcc, v6, v0, vcc
	global_store_dword v[1:2], v3, off
.LBB0_31:
	s_endpgm
	.section	.rodata,"a",@progbits
	.p2align	6, 0x0
	.amdhsa_kernel bluestein_single_fwd_len1200_dim1_half_op_CI_CI
		.amdhsa_group_segment_fixed_size 14400
		.amdhsa_private_segment_fixed_size 0
		.amdhsa_kernarg_size 104
		.amdhsa_user_sgpr_count 6
		.amdhsa_user_sgpr_private_segment_buffer 1
		.amdhsa_user_sgpr_dispatch_ptr 0
		.amdhsa_user_sgpr_queue_ptr 0
		.amdhsa_user_sgpr_kernarg_segment_ptr 1
		.amdhsa_user_sgpr_dispatch_id 0
		.amdhsa_user_sgpr_flat_scratch_init 0
		.amdhsa_user_sgpr_private_segment_size 0
		.amdhsa_uses_dynamic_stack 0
		.amdhsa_system_sgpr_private_segment_wavefront_offset 0
		.amdhsa_system_sgpr_workgroup_id_x 1
		.amdhsa_system_sgpr_workgroup_id_y 0
		.amdhsa_system_sgpr_workgroup_id_z 0
		.amdhsa_system_sgpr_workgroup_info 0
		.amdhsa_system_vgpr_workitem_id 0
		.amdhsa_next_free_vgpr 123
		.amdhsa_next_free_sgpr 20
		.amdhsa_reserve_vcc 1
		.amdhsa_reserve_flat_scratch 0
		.amdhsa_float_round_mode_32 0
		.amdhsa_float_round_mode_16_64 0
		.amdhsa_float_denorm_mode_32 3
		.amdhsa_float_denorm_mode_16_64 3
		.amdhsa_dx10_clamp 1
		.amdhsa_ieee_mode 1
		.amdhsa_fp16_overflow 0
		.amdhsa_exception_fp_ieee_invalid_op 0
		.amdhsa_exception_fp_denorm_src 0
		.amdhsa_exception_fp_ieee_div_zero 0
		.amdhsa_exception_fp_ieee_overflow 0
		.amdhsa_exception_fp_ieee_underflow 0
		.amdhsa_exception_fp_ieee_inexact 0
		.amdhsa_exception_int_div_zero 0
	.end_amdhsa_kernel
	.text
.Lfunc_end0:
	.size	bluestein_single_fwd_len1200_dim1_half_op_CI_CI, .Lfunc_end0-bluestein_single_fwd_len1200_dim1_half_op_CI_CI
                                        ; -- End function
	.section	.AMDGPU.csdata,"",@progbits
; Kernel info:
; codeLenInByte = 28768
; NumSgprs: 24
; NumVgprs: 123
; ScratchSize: 0
; MemoryBound: 0
; FloatMode: 240
; IeeeMode: 1
; LDSByteSize: 14400 bytes/workgroup (compile time only)
; SGPRBlocks: 2
; VGPRBlocks: 30
; NumSGPRsForWavesPerEU: 24
; NumVGPRsForWavesPerEU: 123
; Occupancy: 2
; WaveLimiterHint : 1
; COMPUTE_PGM_RSRC2:SCRATCH_EN: 0
; COMPUTE_PGM_RSRC2:USER_SGPR: 6
; COMPUTE_PGM_RSRC2:TRAP_HANDLER: 0
; COMPUTE_PGM_RSRC2:TGID_X_EN: 1
; COMPUTE_PGM_RSRC2:TGID_Y_EN: 0
; COMPUTE_PGM_RSRC2:TGID_Z_EN: 0
; COMPUTE_PGM_RSRC2:TIDIG_COMP_CNT: 0
	.type	__hip_cuid_bfe482d00f7e51d4,@object ; @__hip_cuid_bfe482d00f7e51d4
	.section	.bss,"aw",@nobits
	.globl	__hip_cuid_bfe482d00f7e51d4
__hip_cuid_bfe482d00f7e51d4:
	.byte	0                               ; 0x0
	.size	__hip_cuid_bfe482d00f7e51d4, 1

	.ident	"AMD clang version 19.0.0git (https://github.com/RadeonOpenCompute/llvm-project roc-6.4.0 25133 c7fe45cf4b819c5991fe208aaa96edf142730f1d)"
	.section	".note.GNU-stack","",@progbits
	.addrsig
	.addrsig_sym __hip_cuid_bfe482d00f7e51d4
	.amdgpu_metadata
---
amdhsa.kernels:
  - .args:
      - .actual_access:  read_only
        .address_space:  global
        .offset:         0
        .size:           8
        .value_kind:     global_buffer
      - .actual_access:  read_only
        .address_space:  global
        .offset:         8
        .size:           8
        .value_kind:     global_buffer
      - .actual_access:  read_only
        .address_space:  global
        .offset:         16
        .size:           8
        .value_kind:     global_buffer
      - .actual_access:  read_only
        .address_space:  global
        .offset:         24
        .size:           8
        .value_kind:     global_buffer
      - .actual_access:  read_only
        .address_space:  global
        .offset:         32
        .size:           8
        .value_kind:     global_buffer
      - .offset:         40
        .size:           8
        .value_kind:     by_value
      - .address_space:  global
        .offset:         48
        .size:           8
        .value_kind:     global_buffer
      - .address_space:  global
        .offset:         56
        .size:           8
        .value_kind:     global_buffer
      - .address_space:  global
        .offset:         64
        .size:           8
        .value_kind:     global_buffer
      - .address_space:  global
        .offset:         72
        .size:           8
        .value_kind:     global_buffer
      - .offset:         80
        .size:           4
        .value_kind:     by_value
      - .address_space:  global
        .offset:         88
        .size:           8
        .value_kind:     global_buffer
      - .address_space:  global
        .offset:         96
        .size:           8
        .value_kind:     global_buffer
    .group_segment_fixed_size: 14400
    .kernarg_segment_align: 8
    .kernarg_segment_size: 104
    .language:       OpenCL C
    .language_version:
      - 2
      - 0
    .max_flat_workgroup_size: 225
    .name:           bluestein_single_fwd_len1200_dim1_half_op_CI_CI
    .private_segment_fixed_size: 0
    .sgpr_count:     24
    .sgpr_spill_count: 0
    .symbol:         bluestein_single_fwd_len1200_dim1_half_op_CI_CI.kd
    .uniform_work_group_size: 1
    .uses_dynamic_stack: false
    .vgpr_count:     123
    .vgpr_spill_count: 0
    .wavefront_size: 64
amdhsa.target:   amdgcn-amd-amdhsa--gfx906
amdhsa.version:
  - 1
  - 2
...

	.end_amdgpu_metadata
